;; amdgpu-corpus repo=LLNL/RAJAPerf kind=compiled arch=gfx90a opt=O3
	.text
	.amdgcn_target "amdgcn-amd-amdhsa--gfx90a"
	.amdhsa_code_object_version 6
	.section	.text._ZN8rajaperf9polybench9poly_adi1ILm256EEEvldddddPdS2_S2_S2_,"axG",@progbits,_ZN8rajaperf9polybench9poly_adi1ILm256EEEvldddddPdS2_S2_S2_,comdat
	.protected	_ZN8rajaperf9polybench9poly_adi1ILm256EEEvldddddPdS2_S2_S2_ ; -- Begin function _ZN8rajaperf9polybench9poly_adi1ILm256EEEvldddddPdS2_S2_S2_
	.globl	_ZN8rajaperf9polybench9poly_adi1ILm256EEEvldddddPdS2_S2_S2_
	.p2align	8
	.type	_ZN8rajaperf9polybench9poly_adi1ILm256EEEvldddddPdS2_S2_S2_,@function
_ZN8rajaperf9polybench9poly_adi1ILm256EEEvldddddPdS2_S2_S2_: ; @_ZN8rajaperf9polybench9poly_adi1ILm256EEEvldddddPdS2_S2_S2_
; %bb.0:
	s_load_dwordx16 s[8:23], s[4:5], 0x0
	s_mov_b32 s7, 0
	s_lshl_b64 s[0:1], s[6:7], 8
	v_add_u32_e32 v1, 1, v0
	v_mov_b32_e32 v2, s1
	v_add_co_u32_e32 v8, vcc, s0, v1
	s_waitcnt lgkmcnt(0)
	s_add_u32 s2, s8, -1
	v_addc_co_u32_e32 v9, vcc, 0, v2, vcc
	s_addc_u32 s3, s9, -1
	s_mov_b64 s[28:29], -1
	v_cmp_gt_i64_e32 vcc, s[2:3], v[8:9]
	s_and_saveexec_b64 s[24:25], vcc
	s_cbranch_execz .LBB0_12
; %bb.1:
	s_load_dwordx4 s[24:27], s[4:5], 0x40
	v_mov_b32_e32 v1, s1
	v_add_co_u32_e32 v2, vcc, s0, v0
	v_addc_co_u32_e32 v3, vcc, 0, v1, vcc
	v_lshlrev_b64 v[2:3], 3, v[2:3]
	s_waitcnt lgkmcnt(0)
	v_mov_b32_e32 v1, s27
	v_add_co_u32_e32 v6, vcc, s26, v2
	v_addc_co_u32_e32 v7, vcc, v1, v3, vcc
	v_mul_lo_u32 v1, v9, s8
	v_mul_lo_u32 v10, v8, s9
	v_mad_u64_u32 v[8:9], s[0:1], v8, s8, 0
	v_add3_u32 v9, v9, v10, v1
	v_lshlrev_b64 v[8:9], 3, v[8:9]
	v_mov_b32_e32 v4, 0
	v_mov_b32_e32 v1, s21
	v_add_co_u32_e32 v10, vcc, s20, v8
	v_mov_b32_e32 v5, 0x3ff00000
	v_addc_co_u32_e32 v11, vcc, v1, v9, vcc
	v_mov_b32_e32 v12, v4
	v_mov_b32_e32 v13, v4
	global_store_dwordx2 v[6:7], v[4:5], off offset:8
	global_store_dwordx2 v[10:11], v[12:13], off
	global_load_dwordx2 v[10:11], v[6:7], off offset:8
	v_cmp_lt_i64_e64 s[0:1], s[8:9], 3
	v_mov_b32_e32 v1, s23
	s_and_b64 vcc, exec, s[0:1]
	v_add_co_u32_e64 v12, s[0:1], s22, v8
	s_mul_i32 s33, s2, s9
	s_mul_hi_u32 s34, s2, s8
	s_mul_i32 s35, s3, s8
	s_mul_i32 s4, s2, s8
	v_addc_co_u32_e64 v13, s[0:1], v1, v9, s[0:1]
	s_waitcnt vmcnt(0)
	global_store_dwordx2 v[12:13], v[10:11], off
	s_cbranch_vccz .LBB0_3
; %bb.2:
	s_add_i32 s0, s34, s33
	s_add_i32 s5, s0, s35
	s_lshl_b64 s[0:1], s[4:5], 3
	s_add_u32 s0, s26, s0
	s_addc_u32 s1, s27, s1
	v_mov_b32_e32 v1, s1
	v_add_co_u32_e32 v10, vcc, s0, v2
	v_addc_co_u32_e32 v11, vcc, v1, v3, vcc
	global_store_dwordx2 v[10:11], v[4:5], off offset:8
	s_mov_b64 s[28:29], 0
.LBB0_3:
	s_andn2_b64 vcc, exec, s[28:29]
	s_cbranch_vccnz .LBB0_12
; %bb.4:
	v_mov_b32_e32 v1, s21
	v_add_co_u32_e32 v10, vcc, s20, v8
	s_lshl_b64 s[6:7], s[6:7], 11
	v_lshlrev_b32_e32 v22, 3, v0
	v_addc_co_u32_e32 v11, vcc, v1, v9, vcc
	v_or_b32_e32 v1, s6, v22
	v_mov_b32_e32 v12, s7
	v_add_co_u32_e32 v1, vcc, 16, v1
	v_addc_co_u32_e32 v14, vcc, 0, v12, vcc
	v_pk_mov_b32 v[12:13], s[20:21], s[20:21] op_sel:[0,1]
	v_mad_u64_u32 v[12:13], s[0:1], v1, s8, v[12:13]
	v_mul_lo_u32 v18, v1, s9
	v_mul_lo_u32 v19, v14, s8
	v_add3_u32 v13, v19, v13, v18
	v_add_co_u32_e32 v12, vcc, -8, v12
	v_addc_co_u32_e32 v13, vcc, -1, v13, vcc
	v_mov_b32_e32 v15, s23
	v_add_co_u32_e32 v14, vcc, s22, v8
	v_pk_mov_b32 v[16:17], s[22:23], s[22:23] op_sel:[0,1]
	v_addc_co_u32_e32 v15, vcc, v15, v9, vcc
	v_mad_u64_u32 v[16:17], s[0:1], v1, s8, v[16:17]
	v_add3_u32 v1, v19, v17, v18
	v_add_co_u32_e32 v16, vcc, -8, v16
	v_addc_co_u32_e32 v17, vcc, -1, v1, vcc
	v_cmp_ge_u64_e32 vcc, v[10:11], v[16:17]
	v_cmp_ge_u64_e64 s[0:1], v[14:15], v[12:13]
	v_fma_f64 v[4:5], s[16:17], 2.0, 1.0
	s_or_b64 s[0:1], vcc, s[0:1]
	s_and_saveexec_b64 s[28:29], s[0:1]
	s_xor_b64 s[0:1], exec, s[28:29]
	s_cbranch_execz .LBB0_7
; %bb.5:
	global_load_dwordx2 v[16:17], v[10:11], off
	global_load_dwordx2 v[12:13], v[14:15], off
	v_add_co_u32_e32 v1, vcc, 8, v8
	s_add_u32 s28, s8, -2
	v_addc_co_u32_e32 v8, vcc, 0, v9, vcc
	s_addc_u32 s29, s9, -1
	s_lshl_b64 s[30:31], s[8:9], 3
	v_mov_b32_e32 v9, s23
	v_add_co_u32_e32 v10, vcc, s22, v1
	s_add_u32 s5, s6, s30
	v_addc_co_u32_e32 v11, vcc, v9, v8, vcc
	s_addc_u32 s36, s7, s31
	v_mov_b32_e32 v9, s21
	v_add_co_u32_e32 v14, vcc, s20, v1
	s_add_u32 s5, s24, s5
	v_addc_co_u32_e32 v15, vcc, v9, v8, vcc
	s_addc_u32 s36, s25, s36
	v_mov_b32_e32 v1, s36
	v_add_co_u32_e32 v8, vcc, s5, v22
	v_addc_co_u32_e32 v1, vcc, 0, v1, vcc
	v_add_co_u32_e32 v18, vcc, 8, v8
	v_addc_co_u32_e32 v19, vcc, 0, v1, vcc
	v_pk_mov_b32 v[20:21], s[12:13], s[12:13] op_sel:[0,1]
	v_mov_b32_e32 v1, s31
.LBB0_6:                                ; =>This Inner Loop Header: Depth=1
	s_waitcnt vmcnt(1)
	v_fma_f64 v[28:29], s[10:11], v[16:17], v[20:21]
	v_div_scale_f64 v[8:9], s[36:37], v[28:29], v[28:29], -s[14:15]
	v_rcp_f64_e32 v[22:23], v[8:9]
	v_div_scale_f64 v[16:17], vcc, -s[14:15], v[28:29], -s[14:15]
	s_add_u32 s28, s28, -1
	v_fma_f64 v[24:25], -v[8:9], v[22:23], 1.0
	v_fmac_f64_e32 v[22:23], v[22:23], v[24:25]
	v_fma_f64 v[24:25], -v[8:9], v[22:23], 1.0
	v_fmac_f64_e32 v[22:23], v[22:23], v[24:25]
	v_mul_f64 v[24:25], v[16:17], v[22:23]
	v_fma_f64 v[8:9], -v[8:9], v[24:25], v[16:17]
	v_div_fmas_f64 v[8:9], v[8:9], v[22:23], v[24:25]
	v_div_fixup_f64 v[16:17], v[8:9], v[28:29], -s[14:15]
	global_store_dwordx2 v[14:15], v[16:17], off
	global_load_dwordx4 v[24:27], v[18:19], off offset:-8
	global_load_dwordx2 v[30:31], v[18:19], off offset:8
	v_add_co_u32_e32 v14, vcc, 8, v14
	v_addc_co_u32_e32 v15, vcc, 0, v15, vcc
	v_add_co_u32_e32 v18, vcc, s30, v18
	v_addc_co_u32_e32 v19, vcc, v19, v1, vcc
	s_addc_u32 s29, s29, -1
	s_cmp_eq_u64 s[28:29], 0
                                        ; implicit-def: $vgpr22
                                        ; implicit-def: $vgpr8_vgpr9
	s_waitcnt vmcnt(1)
	v_mul_f64 v[24:25], v[24:25], s[16:17]
	v_fma_f64 v[24:25], v[4:5], v[26:27], -v[24:25]
	s_waitcnt vmcnt(0)
	v_fma_f64 v[24:25], -v[30:31], s[18:19], v[24:25]
	v_fma_f64 v[12:13], -v[12:13], s[10:11], v[24:25]
	v_div_scale_f64 v[24:25], s[36:37], v[28:29], v[28:29], v[12:13]
	v_rcp_f64_e32 v[30:31], v[24:25]
	v_div_scale_f64 v[26:27], vcc, v[12:13], v[28:29], v[12:13]
	v_fma_f64 v[32:33], -v[24:25], v[30:31], 1.0
	v_fmac_f64_e32 v[30:31], v[30:31], v[32:33]
	v_fma_f64 v[32:33], -v[24:25], v[30:31], 1.0
	v_fmac_f64_e32 v[30:31], v[30:31], v[32:33]
	v_mul_f64 v[32:33], v[26:27], v[30:31]
	v_fma_f64 v[24:25], -v[24:25], v[32:33], v[26:27]
	v_div_fmas_f64 v[24:25], v[24:25], v[30:31], v[32:33]
	v_div_fixup_f64 v[12:13], v[24:25], v[28:29], v[12:13]
	global_store_dwordx2 v[10:11], v[12:13], off
	v_add_co_u32_e32 v10, vcc, 8, v10
	v_addc_co_u32_e32 v11, vcc, 0, v11, vcc
	s_cbranch_scc0 .LBB0_6
.LBB0_7:
	s_or_saveexec_b64 s[0:1], s[0:1]
	v_add_co_u32_e32 v6, vcc, 8, v6
	v_addc_co_u32_e32 v1, vcc, 0, v7, vcc
	s_xor_b64 exec, exec, s[0:1]
	s_cbranch_execz .LBB0_10
; %bb.8:
	s_lshl_b64 s[28:29], s[8:9], 3
	s_add_u32 s5, s6, s28
	s_addc_u32 s30, s7, s29
	s_add_u32 s5, s24, s5
	s_addc_u32 s24, s25, s30
	v_mov_b32_e32 v7, s24
	v_add_co_u32_e32 v10, vcc, s5, v22
	v_addc_co_u32_e32 v7, vcc, 0, v7, vcc
	v_add_co_u32_e32 v10, vcc, 8, v10
	v_addc_co_u32_e32 v11, vcc, 0, v7, vcc
	;; [unrolled: 2-line block ×3, first 2 shown]
	v_mov_b32_e32 v9, s23
	v_add_co_u32_e32 v8, vcc, s22, v7
	v_addc_co_u32_e32 v9, vcc, v9, v13, vcc
	v_mov_b32_e32 v14, s21
	v_add_co_u32_e32 v12, vcc, s20, v7
	s_add_u32 s24, s8, -2
	v_addc_co_u32_e32 v13, vcc, v14, v13, vcc
	s_addc_u32 s25, s9, -1
	v_pk_mov_b32 v[14:15], s[12:13], s[12:13] op_sel:[0,1]
	v_mov_b32_e32 v7, s29
.LBB0_9:                                ; =>This Inner Loop Header: Depth=1
	global_load_dwordx2 v[16:17], v[12:13], off offset:-8
	s_add_u32 s24, s24, -1
	s_addc_u32 s25, s25, -1
	s_cmp_eq_u64 s[24:25], 0
	s_waitcnt vmcnt(0)
	v_fma_f64 v[20:21], s[10:11], v[16:17], v[14:15]
	v_div_scale_f64 v[16:17], s[12:13], v[20:21], v[20:21], -s[14:15]
	v_rcp_f64_e32 v[22:23], v[16:17]
	v_div_scale_f64 v[18:19], vcc, -s[14:15], v[20:21], -s[14:15]
	v_fma_f64 v[24:25], -v[16:17], v[22:23], 1.0
	v_fmac_f64_e32 v[22:23], v[22:23], v[24:25]
	v_fma_f64 v[24:25], -v[16:17], v[22:23], 1.0
	v_fmac_f64_e32 v[22:23], v[22:23], v[24:25]
	v_mul_f64 v[24:25], v[18:19], v[22:23]
	v_fma_f64 v[16:17], -v[16:17], v[24:25], v[18:19]
	v_div_fmas_f64 v[16:17], v[16:17], v[22:23], v[24:25]
	v_div_fixup_f64 v[16:17], v[16:17], v[20:21], -s[14:15]
	global_store_dwordx2 v[12:13], v[16:17], off
	global_load_dwordx4 v[16:19], v[10:11], off offset:-8
	s_nop 0
	global_load_dwordx2 v[22:23], v[10:11], off offset:8
	global_load_dwordx2 v[24:25], v[8:9], off offset:-8
	v_add_co_u32_e32 v12, vcc, 8, v12
	v_addc_co_u32_e32 v13, vcc, 0, v13, vcc
	v_add_co_u32_e32 v10, vcc, s28, v10
	v_addc_co_u32_e32 v11, vcc, v11, v7, vcc
	s_waitcnt vmcnt(2)
	v_mul_f64 v[16:17], v[16:17], s[16:17]
	v_fma_f64 v[16:17], v[4:5], v[18:19], -v[16:17]
	s_waitcnt vmcnt(1)
	v_fma_f64 v[16:17], -v[22:23], s[18:19], v[16:17]
	s_waitcnt vmcnt(0)
	v_fma_f64 v[16:17], -v[24:25], s[10:11], v[16:17]
	v_div_scale_f64 v[18:19], s[12:13], v[20:21], v[20:21], v[16:17]
	v_rcp_f64_e32 v[24:25], v[18:19]
	v_div_scale_f64 v[22:23], vcc, v[16:17], v[20:21], v[16:17]
	v_fma_f64 v[26:27], -v[18:19], v[24:25], 1.0
	v_fmac_f64_e32 v[24:25], v[24:25], v[26:27]
	v_fma_f64 v[26:27], -v[18:19], v[24:25], 1.0
	v_fmac_f64_e32 v[24:25], v[24:25], v[26:27]
	v_mul_f64 v[26:27], v[22:23], v[24:25]
	v_fma_f64 v[18:19], -v[18:19], v[26:27], v[22:23]
	v_div_fmas_f64 v[18:19], v[18:19], v[24:25], v[26:27]
	v_div_fixup_f64 v[16:17], v[18:19], v[20:21], v[16:17]
	global_store_dwordx2 v[8:9], v[16:17], off
	v_add_co_u32_e32 v8, vcc, 8, v8
	v_addc_co_u32_e32 v9, vcc, 0, v9, vcc
	s_cbranch_scc0 .LBB0_9
.LBB0_10:
	s_or_b64 exec, exec, s[0:1]
	s_add_i32 s0, s34, s33
	s_add_i32 s5, s0, s35
	s_lshl_b64 s[0:1], s[4:5], 3
	s_add_u32 s4, s26, s0
	s_addc_u32 s5, s27, s1
	v_mov_b32_e32 v4, s5
	v_add_co_u32_e32 v2, vcc, s4, v2
	v_addc_co_u32_e32 v3, vcc, v4, v3, vcc
	v_mov_b32_e32 v4, 0
	v_mov_b32_e32 v5, 0x3ff00000
	v_lshlrev_b32_e32 v0, 3, v0
	global_store_dwordx2 v[2:3], v[4:5], off offset:8
	v_mov_b32_e32 v2, s7
	v_add_co_u32_e32 v0, vcc, s6, v0
	v_addc_co_u32_e32 v2, vcc, 0, v2, vcc
	s_add_u32 s10, s8, -2
	v_add_co_u32_e32 v0, vcc, 16, v0
	s_addc_u32 s11, s9, -1
	v_mad_u64_u32 v[4:5], s[4:5], s8, v0, -16
	s_mul_i32 s4, s8, s11
	s_mul_hi_u32 s5, s8, s10
	v_addc_co_u32_e32 v2, vcc, 0, v2, vcc
	s_add_i32 s4, s5, s4
	s_mul_i32 s5, s9, s10
	v_mul_lo_u32 v2, s8, v2
	v_mul_lo_u32 v3, s9, v0
	s_add_i32 s5, s4, s5
	s_mul_i32 s4, s8, s10
	v_add3_u32 v0, v3, v5, v2
	v_mov_b32_e32 v3, s23
	v_add_co_u32_e32 v2, vcc, s22, v4
	s_lshl_b64 s[4:5], s[4:5], 3
	s_lshl_b64 s[6:7], s[8:9], 3
	v_addc_co_u32_e32 v3, vcc, v3, v0, vcc
	s_sub_u32 s6, 0, s6
	v_mov_b32_e32 v5, s21
	v_add_co_u32_e32 v4, vcc, s20, v4
	s_subb_u32 s7, 0, s7
	v_addc_co_u32_e32 v5, vcc, v5, v0, vcc
	v_mov_b32_e32 v0, s1
	v_mov_b32_e32 v7, s5
	;; [unrolled: 1-line block ×3, first 2 shown]
.LBB0_11:                               ; =>This Inner Loop Header: Depth=1
	v_add_co_u32_e32 v12, vcc, s0, v6
	global_load_dwordx2 v[10:11], v[4:5], off
	v_addc_co_u32_e32 v13, vcc, v1, v0, vcc
	global_load_dwordx2 v[14:15], v[2:3], off
	global_load_dwordx2 v[16:17], v[12:13], off
	v_add_co_u32_e32 v12, vcc, s4, v6
	v_addc_co_u32_e32 v13, vcc, v1, v7, vcc
	v_add_co_u32_e32 v2, vcc, -8, v2
	v_addc_co_u32_e32 v3, vcc, -1, v3, vcc
	v_add_co_u32_e32 v4, vcc, -8, v4
	v_addc_co_u32_e32 v5, vcc, -1, v5, vcc
	s_add_u32 s2, s2, -1
	v_add_co_u32_e32 v6, vcc, s6, v6
	s_addc_u32 s3, s3, -1
	v_addc_co_u32_e32 v1, vcc, v1, v8, vcc
	v_cmp_lt_u64_e64 s[8:9], s[2:3], 2
	s_and_b64 vcc, exec, s[8:9]
	s_waitcnt vmcnt(0)
	v_fmac_f64_e32 v[14:15], v[10:11], v[16:17]
	global_store_dwordx2 v[12:13], v[14:15], off
	s_cbranch_vccz .LBB0_11
.LBB0_12:
	s_endpgm
	.section	.rodata,"a",@progbits
	.p2align	6, 0x0
	.amdhsa_kernel _ZN8rajaperf9polybench9poly_adi1ILm256EEEvldddddPdS2_S2_S2_
		.amdhsa_group_segment_fixed_size 0
		.amdhsa_private_segment_fixed_size 0
		.amdhsa_kernarg_size 80
		.amdhsa_user_sgpr_count 6
		.amdhsa_user_sgpr_private_segment_buffer 1
		.amdhsa_user_sgpr_dispatch_ptr 0
		.amdhsa_user_sgpr_queue_ptr 0
		.amdhsa_user_sgpr_kernarg_segment_ptr 1
		.amdhsa_user_sgpr_dispatch_id 0
		.amdhsa_user_sgpr_flat_scratch_init 0
		.amdhsa_user_sgpr_kernarg_preload_length 0
		.amdhsa_user_sgpr_kernarg_preload_offset 0
		.amdhsa_user_sgpr_private_segment_size 0
		.amdhsa_uses_dynamic_stack 0
		.amdhsa_system_sgpr_private_segment_wavefront_offset 0
		.amdhsa_system_sgpr_workgroup_id_x 1
		.amdhsa_system_sgpr_workgroup_id_y 0
		.amdhsa_system_sgpr_workgroup_id_z 0
		.amdhsa_system_sgpr_workgroup_info 0
		.amdhsa_system_vgpr_workitem_id 0
		.amdhsa_next_free_vgpr 34
		.amdhsa_next_free_sgpr 38
		.amdhsa_accum_offset 36
		.amdhsa_reserve_vcc 1
		.amdhsa_reserve_flat_scratch 0
		.amdhsa_float_round_mode_32 0
		.amdhsa_float_round_mode_16_64 0
		.amdhsa_float_denorm_mode_32 3
		.amdhsa_float_denorm_mode_16_64 3
		.amdhsa_dx10_clamp 1
		.amdhsa_ieee_mode 1
		.amdhsa_fp16_overflow 0
		.amdhsa_tg_split 0
		.amdhsa_exception_fp_ieee_invalid_op 0
		.amdhsa_exception_fp_denorm_src 0
		.amdhsa_exception_fp_ieee_div_zero 0
		.amdhsa_exception_fp_ieee_overflow 0
		.amdhsa_exception_fp_ieee_underflow 0
		.amdhsa_exception_fp_ieee_inexact 0
		.amdhsa_exception_int_div_zero 0
	.end_amdhsa_kernel
	.section	.text._ZN8rajaperf9polybench9poly_adi1ILm256EEEvldddddPdS2_S2_S2_,"axG",@progbits,_ZN8rajaperf9polybench9poly_adi1ILm256EEEvldddddPdS2_S2_S2_,comdat
.Lfunc_end0:
	.size	_ZN8rajaperf9polybench9poly_adi1ILm256EEEvldddddPdS2_S2_S2_, .Lfunc_end0-_ZN8rajaperf9polybench9poly_adi1ILm256EEEvldddddPdS2_S2_S2_
                                        ; -- End function
	.section	.AMDGPU.csdata,"",@progbits
; Kernel info:
; codeLenInByte = 1580
; NumSgprs: 42
; NumVgprs: 34
; NumAgprs: 0
; TotalNumVgprs: 34
; ScratchSize: 0
; MemoryBound: 0
; FloatMode: 240
; IeeeMode: 1
; LDSByteSize: 0 bytes/workgroup (compile time only)
; SGPRBlocks: 5
; VGPRBlocks: 4
; NumSGPRsForWavesPerEU: 42
; NumVGPRsForWavesPerEU: 34
; AccumOffset: 36
; Occupancy: 8
; WaveLimiterHint : 0
; COMPUTE_PGM_RSRC2:SCRATCH_EN: 0
; COMPUTE_PGM_RSRC2:USER_SGPR: 6
; COMPUTE_PGM_RSRC2:TRAP_HANDLER: 0
; COMPUTE_PGM_RSRC2:TGID_X_EN: 1
; COMPUTE_PGM_RSRC2:TGID_Y_EN: 0
; COMPUTE_PGM_RSRC2:TGID_Z_EN: 0
; COMPUTE_PGM_RSRC2:TIDIG_COMP_CNT: 0
; COMPUTE_PGM_RSRC3_GFX90A:ACCUM_OFFSET: 8
; COMPUTE_PGM_RSRC3_GFX90A:TG_SPLIT: 0
	.section	.text._ZN8rajaperf9polybench9poly_adi2ILm256EEEvldddddPdS2_S2_S2_,"axG",@progbits,_ZN8rajaperf9polybench9poly_adi2ILm256EEEvldddddPdS2_S2_S2_,comdat
	.protected	_ZN8rajaperf9polybench9poly_adi2ILm256EEEvldddddPdS2_S2_S2_ ; -- Begin function _ZN8rajaperf9polybench9poly_adi2ILm256EEEvldddddPdS2_S2_S2_
	.globl	_ZN8rajaperf9polybench9poly_adi2ILm256EEEvldddddPdS2_S2_S2_
	.p2align	8
	.type	_ZN8rajaperf9polybench9poly_adi2ILm256EEEvldddddPdS2_S2_S2_,@function
_ZN8rajaperf9polybench9poly_adi2ILm256EEEvldddddPdS2_S2_S2_: ; @_ZN8rajaperf9polybench9poly_adi2ILm256EEEvldddddPdS2_S2_S2_
; %bb.0:
	s_load_dwordx16 s[8:23], s[4:5], 0x0
	s_mov_b32 s7, 0
	s_lshl_b64 s[2:3], s[6:7], 8
	v_add_u32_e32 v1, 1, v0
	v_mov_b32_e32 v3, s3
	v_add_co_u32_e32 v2, vcc, s2, v1
	s_waitcnt lgkmcnt(0)
	s_add_u32 s28, s8, -1
	v_addc_co_u32_e32 v3, vcc, 0, v3, vcc
	s_addc_u32 s29, s9, -1
	s_mov_b64 s[30:31], -1
	v_cmp_gt_i64_e32 vcc, s[28:29], v[2:3]
	s_and_saveexec_b64 s[0:1], vcc
	s_cbranch_execz .LBB1_16
; %bb.1:
	s_load_dwordx4 s[24:27], s[4:5], 0x40
	v_mul_lo_u32 v1, v3, s8
	v_mul_lo_u32 v4, v2, s9
	v_mad_u64_u32 v[2:3], s[0:1], v2, s8, 0
	v_add3_u32 v3, v3, v4, v1
	v_lshlrev_b64 v[8:9], 3, v[2:3]
	s_waitcnt lgkmcnt(0)
	v_mov_b32_e32 v1, s25
	v_add_co_u32_e32 v4, vcc, s24, v8
	v_addc_co_u32_e32 v5, vcc, v1, v9, vcc
	v_mov_b32_e32 v6, 0
	v_mov_b32_e32 v1, s21
	v_add_co_u32_e32 v10, vcc, s20, v8
	v_mov_b32_e32 v7, 0x3ff00000
	v_addc_co_u32_e32 v11, vcc, v1, v9, vcc
	v_mov_b32_e32 v12, v6
	v_mov_b32_e32 v13, v6
	global_store_dwordx2 v[4:5], v[6:7], off
	global_store_dwordx2 v[10:11], v[12:13], off
	global_load_dwordx2 v[10:11], v[4:5], off
	v_cmp_lt_i64_e64 s[0:1], s[8:9], 3
	v_mov_b32_e32 v1, s23
	s_and_b64 vcc, exec, s[0:1]
	v_add_co_u32_e64 v12, s[0:1], s22, v8
	v_addc_co_u32_e64 v13, s[0:1], v1, v9, s[0:1]
	s_waitcnt vmcnt(0)
	global_store_dwordx2 v[12:13], v[10:11], off
	s_cbranch_vccz .LBB1_3
; %bb.2:
	s_lshl_b64 s[0:1], s[8:9], 3
	v_mov_b32_e32 v1, s1
	v_add_co_u32_e32 v10, vcc, s0, v4
	v_addc_co_u32_e32 v11, vcc, v5, v1, vcc
	global_store_dwordx2 v[10:11], v[6:7], off offset:-8
	s_mov_b64 s[30:31], 0
.LBB1_3:
	s_andn2_b64 vcc, exec, s[30:31]
	s_cbranch_vccnz .LBB1_16
; %bb.4:
	v_mov_b32_e32 v1, s21
	v_add_co_u32_e32 v10, vcc, s20, v8
	s_lshl_b64 s[4:5], s[6:7], 11
	v_addc_co_u32_e32 v11, vcc, v1, v9, vcc
	v_lshl_or_b32 v1, v0, 3, s4
	v_mov_b32_e32 v12, s5
	v_add_co_u32_e32 v20, vcc, 16, v1
	v_addc_co_u32_e32 v1, vcc, 0, v12, vcc
	v_pk_mov_b32 v[12:13], s[20:21], s[20:21] op_sel:[0,1]
	v_mul_lo_u32 v21, v1, s8
	v_mul_lo_u32 v22, v20, s9
	v_mad_u64_u32 v[12:13], s[0:1], v20, s8, v[12:13]
	v_add3_u32 v13, v21, v13, v22
	v_add_co_u32_e32 v12, vcc, -8, v12
	v_addc_co_u32_e32 v13, vcc, -1, v13, vcc
	v_mov_b32_e32 v15, s23
	v_add_co_u32_e32 v14, vcc, s22, v8
	v_pk_mov_b32 v[18:19], s[22:23], s[22:23] op_sel:[0,1]
	v_mad_u64_u32 v[16:17], s[0:1], v20, s8, 0
	v_addc_co_u32_e32 v15, vcc, v15, v9, vcc
	v_mad_u64_u32 v[18:19], s[0:1], v20, s8, v[18:19]
	v_add3_u32 v1, v17, v22, v21
	v_add3_u32 v17, v21, v19, v22
	v_add_co_u32_e32 v18, vcc, -8, v18
	v_addc_co_u32_e32 v19, vcc, -1, v17, vcc
	v_cmp_ge_u64_e32 vcc, v[10:11], v[18:19]
	v_cmp_ge_u64_e64 s[0:1], v[14:15], v[12:13]
	v_fma_f64 v[6:7], s[10:11], 2.0, 1.0
	s_or_b64 s[0:1], vcc, s[0:1]
	s_and_saveexec_b64 s[6:7], s[0:1]
	s_xor_b64 s[0:1], exec, s[6:7]
	s_cbranch_execz .LBB1_7
; %bb.5:
	global_load_dwordx2 v[18:19], v[10:11], off
	global_load_dwordx2 v[12:13], v[14:15], off
	v_add_co_u32_e32 v8, vcc, 8, v8
	v_addc_co_u32_e32 v9, vcc, 0, v9, vcc
	v_mov_b32_e32 v11, s23
	v_add_co_u32_e32 v10, vcc, s22, v8
	v_addc_co_u32_e32 v11, vcc, v11, v9, vcc
	v_mov_b32_e32 v15, s21
	;; [unrolled: 3-line block ×4, first 2 shown]
	v_add_co_u32_e32 v9, vcc, s26, v16
	v_addc_co_u32_e32 v1, vcc, v1, v8, vcc
	v_add_co_u32_e32 v22, vcc, 8, v9
	v_addc_co_u32_e32 v23, vcc, 0, v1, vcc
	v_mov_b32_e32 v1, s3
	v_add_co_u32_e32 v8, vcc, s2, v0
	v_addc_co_u32_e32 v1, vcc, 0, v1, vcc
	v_mul_lo_u32 v16, s9, v8
	v_mul_lo_u32 v1, s8, v1
	v_mad_u64_u32 v[8:9], s[30:31], s8, v8, 0
	v_add3_u32 v9, v9, v1, v16
	v_lshlrev_b64 v[8:9], 3, v[8:9]
	v_mov_b32_e32 v1, s27
	v_add_co_u32_e32 v8, vcc, s26, v8
	v_addc_co_u32_e32 v1, vcc, v9, v1, vcc
	s_add_u32 s6, s8, -2
	v_add_co_u32_e32 v24, vcc, 8, v8
	s_addc_u32 s7, s9, -1
	v_addc_co_u32_e32 v25, vcc, 0, v1, vcc
	v_pk_mov_b32 v[26:27], s[16:17], s[16:17] op_sel:[0,1]
                                        ; implicit-def: $vgpr1
.LBB1_6:                                ; =>This Inner Loop Header: Depth=1
	s_waitcnt vmcnt(1)
	v_fma_f64 v[28:29], s[14:15], v[18:19], v[26:27]
	v_div_scale_f64 v[8:9], s[30:31], v[28:29], v[28:29], -s[18:19]
	v_rcp_f64_e32 v[18:19], v[8:9]
	v_div_scale_f64 v[16:17], vcc, -s[18:19], v[28:29], -s[18:19]
	s_add_u32 s6, s6, -1
	v_fma_f64 v[30:31], -v[8:9], v[18:19], 1.0
	v_fmac_f64_e32 v[18:19], v[18:19], v[30:31]
	v_fma_f64 v[30:31], -v[8:9], v[18:19], 1.0
	v_fmac_f64_e32 v[18:19], v[18:19], v[30:31]
	v_mul_f64 v[30:31], v[16:17], v[18:19]
	v_fma_f64 v[8:9], -v[8:9], v[30:31], v[16:17]
	v_div_fmas_f64 v[8:9], v[8:9], v[18:19], v[30:31]
	v_div_fixup_f64 v[18:19], v[8:9], v[28:29], -s[18:19]
	global_store_dwordx2 v[14:15], v[18:19], off
	global_load_dwordx2 v[30:31], v[24:25], off
	global_load_dwordx2 v[32:33], v[20:21], off
	;; [unrolled: 1-line block ×3, first 2 shown]
	v_add_co_u32_e32 v14, vcc, 8, v14
	v_addc_co_u32_e32 v15, vcc, 0, v15, vcc
	v_add_co_u32_e32 v20, vcc, 8, v20
	v_addc_co_u32_e32 v21, vcc, 0, v21, vcc
	;; [unrolled: 2-line block ×4, first 2 shown]
	s_addc_u32 s7, s7, -1
	s_cmp_eq_u64 s[6:7], 0
                                        ; implicit-def: $vgpr8_vgpr9
                                        ; implicit-def: $vgpr16_vgpr17
	s_waitcnt vmcnt(2)
	v_mul_f64 v[30:31], v[30:31], s[10:11]
	s_waitcnt vmcnt(1)
	v_fma_f64 v[30:31], v[6:7], v[32:33], -v[30:31]
	s_waitcnt vmcnt(0)
	v_fma_f64 v[30:31], -v[34:35], s[12:13], v[30:31]
	v_fma_f64 v[12:13], -v[12:13], s[14:15], v[30:31]
	v_div_scale_f64 v[30:31], s[30:31], v[28:29], v[28:29], v[12:13]
	v_rcp_f64_e32 v[34:35], v[30:31]
	v_div_scale_f64 v[32:33], vcc, v[12:13], v[28:29], v[12:13]
	v_fma_f64 v[36:37], -v[30:31], v[34:35], 1.0
	v_fmac_f64_e32 v[34:35], v[34:35], v[36:37]
	v_fma_f64 v[36:37], -v[30:31], v[34:35], 1.0
	v_fmac_f64_e32 v[34:35], v[34:35], v[36:37]
	v_mul_f64 v[36:37], v[32:33], v[34:35]
	v_fma_f64 v[30:31], -v[30:31], v[36:37], v[32:33]
	v_div_fmas_f64 v[30:31], v[30:31], v[34:35], v[36:37]
	v_div_fixup_f64 v[12:13], v[30:31], v[28:29], v[12:13]
	global_store_dwordx2 v[10:11], v[12:13], off
	v_add_co_u32_e32 v10, vcc, 8, v10
	v_addc_co_u32_e32 v11, vcc, 0, v11, vcc
	s_cbranch_scc0 .LBB1_6
.LBB1_7:
	s_andn2_saveexec_b64 s[0:1], s[0:1]
	s_cbranch_execz .LBB1_10
; %bb.8:
	v_add_co_u32_e32 v14, vcc, 8, v8
	v_addc_co_u32_e32 v15, vcc, 0, v9, vcc
	v_mov_b32_e32 v9, s27
	v_add_co_u32_e32 v8, vcc, s26, v14
	v_addc_co_u32_e32 v9, vcc, v9, v15, vcc
	v_mov_b32_e32 v11, s23
	;; [unrolled: 3-line block ×3, first 2 shown]
	v_add_co_u32_e32 v13, vcc, s2, v0
	v_addc_co_u32_e32 v12, vcc, 0, v12, vcc
	v_mul_lo_u32 v17, s9, v13
	v_mul_lo_u32 v18, s8, v12
	v_mad_u64_u32 v[12:13], s[2:3], s8, v13, 0
	v_add3_u32 v13, v13, v18, v17
	v_lshlrev_b64 v[12:13], 3, v[12:13]
	v_mov_b32_e32 v17, s27
	v_add_co_u32_e32 v12, vcc, s26, v12
	v_addc_co_u32_e32 v13, vcc, v13, v17, vcc
	v_add_co_u32_e32 v12, vcc, 8, v12
	v_addc_co_u32_e32 v13, vcc, 0, v13, vcc
	v_mov_b32_e32 v17, s21
	v_add_co_u32_e32 v14, vcc, s20, v14
	v_addc_co_u32_e32 v15, vcc, v17, v15, vcc
	v_mov_b32_e32 v17, s27
	v_add_co_u32_e32 v16, vcc, s26, v16
	v_addc_co_u32_e32 v1, vcc, v1, v17, vcc
	s_add_u32 s2, s8, -2
	v_add_co_u32_e32 v16, vcc, 8, v16
	s_addc_u32 s3, s9, -1
	v_addc_co_u32_e32 v17, vcc, 0, v1, vcc
	v_pk_mov_b32 v[18:19], s[16:17], s[16:17] op_sel:[0,1]
.LBB1_9:                                ; =>This Inner Loop Header: Depth=1
	global_load_dwordx2 v[20:21], v[14:15], off offset:-8
	s_add_u32 s2, s2, -1
	s_addc_u32 s3, s3, -1
	s_cmp_eq_u64 s[2:3], 0
	s_waitcnt vmcnt(0)
	v_fma_f64 v[20:21], s[14:15], v[20:21], v[18:19]
	v_div_scale_f64 v[22:23], s[6:7], v[20:21], v[20:21], -s[18:19]
	v_rcp_f64_e32 v[26:27], v[22:23]
	v_div_scale_f64 v[24:25], vcc, -s[18:19], v[20:21], -s[18:19]
	v_fma_f64 v[28:29], -v[22:23], v[26:27], 1.0
	v_fmac_f64_e32 v[26:27], v[26:27], v[28:29]
	v_fma_f64 v[28:29], -v[22:23], v[26:27], 1.0
	v_fmac_f64_e32 v[26:27], v[26:27], v[28:29]
	v_mul_f64 v[28:29], v[24:25], v[26:27]
	v_fma_f64 v[22:23], -v[22:23], v[28:29], v[24:25]
	v_div_fmas_f64 v[22:23], v[22:23], v[26:27], v[28:29]
	v_div_fixup_f64 v[22:23], v[22:23], v[20:21], -s[18:19]
	global_store_dwordx2 v[14:15], v[22:23], off
	global_load_dwordx2 v[22:23], v[12:13], off
	s_nop 0
	global_load_dwordx2 v[24:25], v[8:9], off
	global_load_dwordx2 v[26:27], v[16:17], off
	global_load_dwordx2 v[28:29], v[10:11], off offset:-8
	v_add_co_u32_e32 v14, vcc, 8, v14
	v_addc_co_u32_e32 v15, vcc, 0, v15, vcc
	v_add_co_u32_e32 v8, vcc, 8, v8
	v_addc_co_u32_e32 v9, vcc, 0, v9, vcc
	;; [unrolled: 2-line block ×4, first 2 shown]
	s_waitcnt vmcnt(3)
	v_mul_f64 v[22:23], v[22:23], s[10:11]
	s_waitcnt vmcnt(2)
	v_fma_f64 v[22:23], v[6:7], v[24:25], -v[22:23]
	s_waitcnt vmcnt(1)
	v_fma_f64 v[22:23], -v[26:27], s[12:13], v[22:23]
	s_waitcnt vmcnt(0)
	v_fma_f64 v[22:23], -v[28:29], s[14:15], v[22:23]
	v_div_scale_f64 v[24:25], s[6:7], v[20:21], v[20:21], v[22:23]
	v_rcp_f64_e32 v[28:29], v[24:25]
	v_div_scale_f64 v[26:27], vcc, v[22:23], v[20:21], v[22:23]
	v_fma_f64 v[30:31], -v[24:25], v[28:29], 1.0
	v_fmac_f64_e32 v[28:29], v[28:29], v[30:31]
	v_fma_f64 v[30:31], -v[24:25], v[28:29], 1.0
	v_fmac_f64_e32 v[28:29], v[28:29], v[30:31]
	v_mul_f64 v[30:31], v[26:27], v[28:29]
	v_fma_f64 v[24:25], -v[24:25], v[30:31], v[26:27]
	v_div_fmas_f64 v[24:25], v[24:25], v[28:29], v[30:31]
	v_div_fixup_f64 v[20:21], v[24:25], v[20:21], v[22:23]
	global_store_dwordx2 v[10:11], v[20:21], off
	v_add_co_u32_e32 v10, vcc, 8, v10
	v_addc_co_u32_e32 v11, vcc, 0, v11, vcc
	s_cbranch_scc0 .LBB1_9
.LBB1_10:
	s_or_b64 exec, exec, s[0:1]
	s_lshl_b64 s[0:1], s[8:9], 3
	v_mov_b32_e32 v1, s1
	v_add_co_u32_e32 v4, vcc, s0, v4
	v_addc_co_u32_e32 v5, vcc, v5, v1, vcc
	v_mov_b32_e32 v1, s9
	v_add_co_u32_e32 v2, vcc, s8, v2
	v_addc_co_u32_e32 v3, vcc, v3, v1, vcc
	v_mov_b32_e32 v6, 0
	v_mov_b32_e32 v7, 0x3ff00000
	v_lshlrev_b64 v[2:3], 3, v[2:3]
	global_store_dwordx2 v[4:5], v[6:7], off offset:-8
	v_mov_b32_e32 v1, s25
	v_add_co_u32_e32 v7, vcc, s24, v2
	s_add_u32 s2, s8, -3
	v_addc_co_u32_e32 v1, vcc, v1, v3, vcc
	s_addc_u32 s3, s9, -1
	v_add_co_u32_e32 v2, vcc, -8, v7
	v_addc_co_u32_e32 v3, vcc, -1, v1, vcc
	s_lshl_b64 s[0:1], s[2:3], 3
	v_mov_b32_e32 v4, s1
	v_subrev_co_u32_e32 v8, vcc, s0, v7
	v_subb_co_u32_e32 v9, vcc, v1, v4, vcc
	v_add_co_u32_e32 v4, vcc, -8, v8
	v_addc_co_u32_e32 v5, vcc, -1, v9, vcc
	v_cmp_le_u64_e32 vcc, v[4:5], v[2:3]
	v_add_co_u32_e64 v4, s[0:1], -16, v7
	v_addc_co_u32_e64 v5, s[0:1], -1, v1, s[0:1]
	v_bfrev_b32_e32 v7, 4
	v_cmp_lt_u64_e64 s[0:1], s[2:3], v[6:7]
	v_add_co_u32_e64 v6, s[2:3], -16, v8
	v_addc_co_u32_e64 v7, s[2:3], -1, v9, s[2:3]
	v_cmp_le_u64_e64 s[2:3], v[6:7], v[4:5]
	s_and_b64 s[2:3], s[2:3], vcc
	s_and_b64 s[0:1], s[2:3], s[0:1]
	v_lshlrev_b32_e32 v8, 3, v0
	s_and_saveexec_b64 s[2:3], s[0:1]
	s_xor_b64 s[2:3], exec, s[2:3]
	s_cbranch_execz .LBB1_13
; %bb.11:
	global_load_dwordx2 v[0:1], v[2:3], off
	v_mov_b32_e32 v2, s5
	v_add_co_u32_e32 v3, vcc, s4, v8
	v_addc_co_u32_e32 v2, vcc, 0, v2, vcc
	v_add_co_u32_e32 v3, vcc, 16, v3
	v_addc_co_u32_e32 v2, vcc, 0, v2, vcc
	v_mul_lo_u32 v2, s8, v2
	v_mul_lo_u32 v4, s9, v3
	v_mad_u64_u32 v[6:7], s[0:1], s8, v3, -16
	v_add3_u32 v7, v4, v7, v2
	v_mov_b32_e32 v3, s23
	v_add_co_u32_e32 v2, vcc, s22, v6
	v_addc_co_u32_e32 v3, vcc, v3, v7, vcc
	v_mov_b32_e32 v5, s25
	v_add_co_u32_e32 v4, vcc, s24, v6
	v_addc_co_u32_e32 v5, vcc, v5, v7, vcc
	;; [unrolled: 3-line block ×3, first 2 shown]
	s_mov_b64 s[6:7], s[28:29]
                                        ; implicit-def: $vgpr8
.LBB1_12:                               ; =>This Inner Loop Header: Depth=1
	global_load_dwordx2 v[10:11], v[6:7], off
	global_load_dwordx2 v[12:13], v[2:3], off
	v_add_co_u32_e32 v2, vcc, -8, v2
	v_addc_co_u32_e32 v3, vcc, -1, v3, vcc
	s_add_u32 s6, s6, -1
	v_add_co_u32_e32 v6, vcc, -8, v6
	s_addc_u32 s7, s7, -1
	v_addc_co_u32_e32 v7, vcc, -1, v7, vcc
	v_cmp_lt_u64_e64 s[0:1], s[6:7], 2
	s_and_b64 vcc, exec, s[0:1]
	s_waitcnt vmcnt(0)
	v_fmac_f64_e32 v[12:13], v[10:11], v[0:1]
	global_store_dwordx2 v[4:5], v[12:13], off
	v_add_co_u32_e64 v4, s[0:1], -8, v4
	v_addc_co_u32_e64 v5, s[0:1], -1, v5, s[0:1]
	v_pk_mov_b32 v[0:1], v[12:13], v[12:13] op_sel:[0,1]
	s_cbranch_vccz .LBB1_12
.LBB1_13:
	s_andn2_saveexec_b64 s[0:1], s[2:3]
	s_cbranch_execz .LBB1_16
; %bb.14:
	v_mov_b32_e32 v0, s5
	v_add_co_u32_e32 v1, vcc, s4, v8
	v_addc_co_u32_e32 v0, vcc, 0, v0, vcc
	v_add_co_u32_e32 v2, vcc, 16, v1
	v_addc_co_u32_e32 v0, vcc, 0, v0, vcc
	v_mul_lo_u32 v3, s8, v0
	v_pk_mov_b32 v[0:1], s[24:25], s[24:25] op_sel:[0,1]
	v_mul_lo_u32 v6, s9, v2
	v_mad_u64_u32 v[4:5], s[0:1], s8, v2, v[0:1]
	v_add3_u32 v5, v6, v5, v3
	global_load_dwordx2 v[0:1], v[4:5], off offset:-8
	v_mad_u64_u32 v[8:9], s[0:1], s8, v2, -16
	v_add3_u32 v9, v6, v9, v3
	v_mov_b32_e32 v3, s23
	v_add_co_u32_e32 v2, vcc, s22, v8
	v_addc_co_u32_e32 v3, vcc, v3, v9, vcc
	v_add_co_u32_e32 v6, vcc, -8, v4
	v_addc_co_u32_e32 v7, vcc, -1, v5, vcc
	v_mov_b32_e32 v5, s21
	v_add_co_u32_e32 v4, vcc, s20, v8
	v_addc_co_u32_e32 v5, vcc, v5, v9, vcc
.LBB1_15:                               ; =>This Inner Loop Header: Depth=1
	global_load_dwordx2 v[8:9], v[4:5], off
	global_load_dwordx2 v[10:11], v[2:3], off
	v_add_co_u32_e32 v12, vcc, -8, v6
	v_addc_co_u32_e32 v13, vcc, -1, v7, vcc
	v_add_co_u32_e32 v2, vcc, -8, v2
	v_addc_co_u32_e32 v3, vcc, -1, v3, vcc
	s_add_u32 s28, s28, -1
	v_add_co_u32_e32 v4, vcc, -8, v4
	s_addc_u32 s29, s29, -1
	v_addc_co_u32_e32 v5, vcc, -1, v5, vcc
	v_cmp_lt_u64_e64 s[0:1], s[28:29], 2
	s_and_b64 vcc, exec, s[0:1]
	s_waitcnt vmcnt(0)
	v_fmac_f64_e32 v[10:11], v[8:9], v[0:1]
	global_store_dwordx2 v[6:7], v[10:11], off offset:-8
	v_pk_mov_b32 v[0:1], v[10:11], v[10:11] op_sel:[0,1]
	v_pk_mov_b32 v[6:7], v[12:13], v[12:13] op_sel:[0,1]
	s_cbranch_vccz .LBB1_15
.LBB1_16:
	s_endpgm
	.section	.rodata,"a",@progbits
	.p2align	6, 0x0
	.amdhsa_kernel _ZN8rajaperf9polybench9poly_adi2ILm256EEEvldddddPdS2_S2_S2_
		.amdhsa_group_segment_fixed_size 0
		.amdhsa_private_segment_fixed_size 0
		.amdhsa_kernarg_size 80
		.amdhsa_user_sgpr_count 6
		.amdhsa_user_sgpr_private_segment_buffer 1
		.amdhsa_user_sgpr_dispatch_ptr 0
		.amdhsa_user_sgpr_queue_ptr 0
		.amdhsa_user_sgpr_kernarg_segment_ptr 1
		.amdhsa_user_sgpr_dispatch_id 0
		.amdhsa_user_sgpr_flat_scratch_init 0
		.amdhsa_user_sgpr_kernarg_preload_length 0
		.amdhsa_user_sgpr_kernarg_preload_offset 0
		.amdhsa_user_sgpr_private_segment_size 0
		.amdhsa_uses_dynamic_stack 0
		.amdhsa_system_sgpr_private_segment_wavefront_offset 0
		.amdhsa_system_sgpr_workgroup_id_x 1
		.amdhsa_system_sgpr_workgroup_id_y 0
		.amdhsa_system_sgpr_workgroup_id_z 0
		.amdhsa_system_sgpr_workgroup_info 0
		.amdhsa_system_vgpr_workitem_id 0
		.amdhsa_next_free_vgpr 38
		.amdhsa_next_free_sgpr 32
		.amdhsa_accum_offset 40
		.amdhsa_reserve_vcc 1
		.amdhsa_reserve_flat_scratch 0
		.amdhsa_float_round_mode_32 0
		.amdhsa_float_round_mode_16_64 0
		.amdhsa_float_denorm_mode_32 3
		.amdhsa_float_denorm_mode_16_64 3
		.amdhsa_dx10_clamp 1
		.amdhsa_ieee_mode 1
		.amdhsa_fp16_overflow 0
		.amdhsa_tg_split 0
		.amdhsa_exception_fp_ieee_invalid_op 0
		.amdhsa_exception_fp_denorm_src 0
		.amdhsa_exception_fp_ieee_div_zero 0
		.amdhsa_exception_fp_ieee_overflow 0
		.amdhsa_exception_fp_ieee_underflow 0
		.amdhsa_exception_fp_ieee_inexact 0
		.amdhsa_exception_int_div_zero 0
	.end_amdhsa_kernel
	.section	.text._ZN8rajaperf9polybench9poly_adi2ILm256EEEvldddddPdS2_S2_S2_,"axG",@progbits,_ZN8rajaperf9polybench9poly_adi2ILm256EEEvldddddPdS2_S2_S2_,comdat
.Lfunc_end1:
	.size	_ZN8rajaperf9polybench9poly_adi2ILm256EEEvldddddPdS2_S2_S2_, .Lfunc_end1-_ZN8rajaperf9polybench9poly_adi2ILm256EEEvldddddPdS2_S2_S2_
                                        ; -- End function
	.section	.AMDGPU.csdata,"",@progbits
; Kernel info:
; codeLenInByte = 2016
; NumSgprs: 36
; NumVgprs: 38
; NumAgprs: 0
; TotalNumVgprs: 38
; ScratchSize: 0
; MemoryBound: 0
; FloatMode: 240
; IeeeMode: 1
; LDSByteSize: 0 bytes/workgroup (compile time only)
; SGPRBlocks: 4
; VGPRBlocks: 4
; NumSGPRsForWavesPerEU: 36
; NumVGPRsForWavesPerEU: 38
; AccumOffset: 40
; Occupancy: 8
; WaveLimiterHint : 0
; COMPUTE_PGM_RSRC2:SCRATCH_EN: 0
; COMPUTE_PGM_RSRC2:USER_SGPR: 6
; COMPUTE_PGM_RSRC2:TRAP_HANDLER: 0
; COMPUTE_PGM_RSRC2:TGID_X_EN: 1
; COMPUTE_PGM_RSRC2:TGID_Y_EN: 0
; COMPUTE_PGM_RSRC2:TGID_Z_EN: 0
; COMPUTE_PGM_RSRC2:TIDIG_COMP_CNT: 0
; COMPUTE_PGM_RSRC3_GFX90A:ACCUM_OFFSET: 9
; COMPUTE_PGM_RSRC3_GFX90A:TG_SPLIT: 0
	.section	.text._ZN8rajaperf9polybench12poly_adi_lamILm256EZNS0_13POLYBENCH_ADI17runHipVariantImplILm256EEEvNS_9VariantIDEEUllE_EEvlT0_,"axG",@progbits,_ZN8rajaperf9polybench12poly_adi_lamILm256EZNS0_13POLYBENCH_ADI17runHipVariantImplILm256EEEvNS_9VariantIDEEUllE_EEvlT0_,comdat
	.protected	_ZN8rajaperf9polybench12poly_adi_lamILm256EZNS0_13POLYBENCH_ADI17runHipVariantImplILm256EEEvNS_9VariantIDEEUllE_EEvlT0_ ; -- Begin function _ZN8rajaperf9polybench12poly_adi_lamILm256EZNS0_13POLYBENCH_ADI17runHipVariantImplILm256EEEvNS_9VariantIDEEUllE_EEvlT0_
	.globl	_ZN8rajaperf9polybench12poly_adi_lamILm256EZNS0_13POLYBENCH_ADI17runHipVariantImplILm256EEEvNS_9VariantIDEEUllE_EEvlT0_
	.p2align	8
	.type	_ZN8rajaperf9polybench12poly_adi_lamILm256EZNS0_13POLYBENCH_ADI17runHipVariantImplILm256EEEvNS_9VariantIDEEUllE_EEvlT0_,@function
_ZN8rajaperf9polybench12poly_adi_lamILm256EZNS0_13POLYBENCH_ADI17runHipVariantImplILm256EEEvNS_9VariantIDEEUllE_EEvlT0_: ; @_ZN8rajaperf9polybench12poly_adi_lamILm256EZNS0_13POLYBENCH_ADI17runHipVariantImplILm256EEEvNS_9VariantIDEEUllE_EEvlT0_
; %bb.0:
	s_load_dwordx16 s[8:23], s[4:5], 0x0
	s_mov_b32 s7, 0
	s_lshl_b64 s[0:1], s[6:7], 8
	v_add_u32_e32 v1, 1, v0
	v_mov_b32_e32 v2, s1
	v_add_co_u32_e32 v8, vcc, s0, v1
	s_waitcnt lgkmcnt(0)
	s_add_u32 s2, s8, -1
	v_addc_co_u32_e32 v9, vcc, 0, v2, vcc
	s_addc_u32 s3, s9, -1
	v_cmp_gt_i64_e32 vcc, s[2:3], v[8:9]
	s_and_saveexec_b64 s[2:3], vcc
	s_cbranch_execz .LBB2_14
; %bb.1:
	v_mov_b32_e32 v1, s1
	v_add_co_u32_e32 v2, vcc, s0, v0
	v_addc_co_u32_e32 v3, vcc, 0, v1, vcc
	v_lshlrev_b64 v[2:3], 3, v[2:3]
	v_mov_b32_e32 v1, s11
	v_add_co_u32_e32 v6, vcc, s10, v2
	v_addc_co_u32_e32 v7, vcc, v1, v3, vcc
	v_mul_lo_u32 v1, s13, v8
	v_mul_lo_u32 v10, s12, v9
	v_mad_u64_u32 v[8:9], s[0:1], s12, v8, 0
	v_add3_u32 v9, v9, v10, v1
	v_lshlrev_b64 v[8:9], 3, v[8:9]
	v_mov_b32_e32 v4, 0
	v_mov_b32_e32 v1, s15
	v_add_co_u32_e32 v10, vcc, s14, v8
	v_mov_b32_e32 v5, 0x3ff00000
	v_addc_co_u32_e32 v11, vcc, v1, v9, vcc
	v_mov_b32_e32 v12, v4
	v_mov_b32_e32 v13, v4
	global_store_dwordx2 v[6:7], v[4:5], off offset:8
	global_store_dwordx2 v[10:11], v[12:13], off
	global_load_dwordx2 v[10:11], v[6:7], off offset:8
	s_add_u32 s2, s12, -1
	v_cmp_lt_i64_e64 s[0:1], s[12:13], 3
	v_mov_b32_e32 v1, s17
	s_addc_u32 s3, s13, -1
	s_and_b64 vcc, exec, s[0:1]
	v_add_co_u32_e64 v12, s[0:1], s16, v8
	s_mov_b64 s[24:25], -1
	s_mul_i32 s33, s2, s13
	s_mul_hi_u32 s36, s2, s12
	s_mul_i32 s8, s2, s12
	s_mul_i32 s37, s3, s12
	v_addc_co_u32_e64 v13, s[0:1], v1, v9, s[0:1]
	s_waitcnt vmcnt(0)
	global_store_dwordx2 v[12:13], v[10:11], off
	s_cbranch_vccz .LBB2_3
; %bb.2:
	s_add_i32 s0, s36, s33
	s_add_i32 s9, s0, s37
	s_lshl_b64 s[0:1], s[8:9], 3
	s_add_u32 s0, s10, s0
	s_addc_u32 s1, s11, s1
	v_mov_b32_e32 v1, s1
	v_add_co_u32_e32 v10, vcc, s0, v2
	v_addc_co_u32_e32 v11, vcc, v1, v3, vcc
	global_store_dwordx2 v[10:11], v[4:5], off offset:8
	s_mov_b64 s[24:25], 0
.LBB2_3:
	s_andn2_b64 vcc, exec, s[24:25]
	s_cbranch_vccnz .LBB2_14
; %bb.4:
	s_load_dwordx4 s[24:27], s[4:5], 0x40
	s_load_dwordx2 s[28:29], s[4:5], 0x50
	v_mov_b32_e32 v1, s15
	v_add_co_u32_e32 v12, vcc, s14, v8
	s_lshl_b64 s[4:5], s[6:7], 11
	v_lshlrev_b32_e32 v18, 3, v0
	v_addc_co_u32_e32 v13, vcc, v1, v9, vcc
	v_or_b32_e32 v1, s4, v18
	v_mov_b32_e32 v10, s5
	v_add_co_u32_e32 v1, vcc, 16, v1
	v_addc_co_u32_e32 v14, vcc, 0, v10, vcc
	v_pk_mov_b32 v[10:11], s[14:15], s[14:15] op_sel:[0,1]
	v_mad_u64_u32 v[10:11], s[0:1], s12, v1, v[10:11]
	v_mul_lo_u32 v19, s12, v14
	v_mul_lo_u32 v20, s13, v1
	v_add3_u32 v11, v20, v11, v19
	v_add_co_u32_e32 v10, vcc, -8, v10
	v_addc_co_u32_e32 v11, vcc, -1, v11, vcc
	v_mov_b32_e32 v14, s17
	v_add_co_u32_e32 v16, vcc, s16, v8
	v_addc_co_u32_e32 v17, vcc, v14, v9, vcc
	v_pk_mov_b32 v[14:15], s[16:17], s[16:17] op_sel:[0,1]
	v_mad_u64_u32 v[14:15], s[0:1], s12, v1, v[14:15]
	v_add3_u32 v1, v20, v15, v19
	v_add_co_u32_e32 v14, vcc, -8, v14
	v_addc_co_u32_e32 v15, vcc, -1, v1, vcc
	v_cmp_ge_u64_e32 vcc, v[12:13], v[14:15]
	v_cmp_ge_u64_e64 s[0:1], v[16:17], v[10:11]
	s_waitcnt lgkmcnt(0)
	v_fma_f64 v[4:5], s[24:25], 2.0, 1.0
	s_or_b64 s[0:1], vcc, s[0:1]
                                        ; implicit-def: $sgpr6_sgpr7
	s_and_saveexec_b64 s[30:31], s[0:1]
	s_xor_b64 s[0:1], exec, s[30:31]
	s_cbranch_execz .LBB2_8
; %bb.5:
	global_load_dwordx2 v[14:15], v[12:13], off
	global_load_dwordx2 v[10:11], v[16:17], off
	v_add_co_u32_e32 v1, vcc, 8, v8
	s_add_u32 s6, s12, -2
	v_addc_co_u32_e32 v13, vcc, 0, v9, vcc
	s_addc_u32 s7, s13, -1
	s_lshl_b64 s[30:31], s[12:13], 3
	v_mov_b32_e32 v9, s17
	v_add_co_u32_e32 v8, vcc, s16, v1
	s_add_u32 s9, s4, s30
	v_addc_co_u32_e32 v9, vcc, v9, v13, vcc
	s_addc_u32 s34, s5, s31
	v_mov_b32_e32 v16, s15
	v_add_co_u32_e32 v12, vcc, s14, v1
	s_add_u32 s9, s26, s9
	v_addc_co_u32_e32 v13, vcc, v16, v13, vcc
	s_addc_u32 s34, s27, s34
	v_mov_b32_e32 v1, s34
	v_add_co_u32_e32 v16, vcc, s9, v18
	v_addc_co_u32_e32 v1, vcc, 0, v1, vcc
	v_add_co_u32_e32 v16, vcc, 16, v16
	v_addc_co_u32_e32 v17, vcc, 0, v1, vcc
	v_pk_mov_b32 v[18:19], s[22:23], s[22:23] op_sel:[0,1]
	v_mov_b32_e32 v1, s31
	s_mov_b64 s[34:35], s[6:7]
.LBB2_6:                                ; =>This Inner Loop Header: Depth=1
	s_waitcnt vmcnt(1)
	v_fma_f64 v[24:25], s[20:21], v[14:15], v[18:19]
	v_div_scale_f64 v[14:15], s[38:39], v[24:25], v[24:25], -s[18:19]
	v_rcp_f64_e32 v[22:23], v[14:15]
	v_div_scale_f64 v[20:21], vcc, -s[18:19], v[24:25], -s[18:19]
	s_add_u32 s34, s34, -1
	v_fma_f64 v[26:27], -v[14:15], v[22:23], 1.0
	v_fmac_f64_e32 v[22:23], v[22:23], v[26:27]
	v_fma_f64 v[26:27], -v[14:15], v[22:23], 1.0
	v_fmac_f64_e32 v[22:23], v[22:23], v[26:27]
	v_mul_f64 v[26:27], v[20:21], v[22:23]
	v_fma_f64 v[14:15], -v[14:15], v[26:27], v[20:21]
	v_div_fmas_f64 v[14:15], v[14:15], v[22:23], v[26:27]
	v_div_fixup_f64 v[14:15], v[14:15], v[24:25], -s[18:19]
	global_store_dwordx2 v[12:13], v[14:15], off
	global_load_dwordx4 v[20:23], v[16:17], off offset:-16
	global_load_dwordx2 v[26:27], v[16:17], off
	v_add_co_u32_e32 v12, vcc, 8, v12
	v_addc_co_u32_e32 v13, vcc, 0, v13, vcc
	v_add_co_u32_e32 v16, vcc, s30, v16
	v_addc_co_u32_e32 v17, vcc, v17, v1, vcc
	s_addc_u32 s35, s35, -1
	s_cmp_eq_u64 s[34:35], 0
	s_waitcnt vmcnt(1)
	v_mul_f64 v[20:21], s[24:25], v[20:21]
	v_fma_f64 v[20:21], v[4:5], v[22:23], -v[20:21]
	s_waitcnt vmcnt(0)
	v_fma_f64 v[20:21], -s[28:29], v[26:27], v[20:21]
	v_fma_f64 v[10:11], -s[20:21], v[10:11], v[20:21]
	v_div_scale_f64 v[20:21], s[38:39], v[24:25], v[24:25], v[10:11]
	v_rcp_f64_e32 v[26:27], v[20:21]
	v_div_scale_f64 v[22:23], vcc, v[10:11], v[24:25], v[10:11]
	v_fma_f64 v[28:29], -v[20:21], v[26:27], 1.0
	v_fmac_f64_e32 v[26:27], v[26:27], v[28:29]
	v_fma_f64 v[28:29], -v[20:21], v[26:27], 1.0
	v_fmac_f64_e32 v[26:27], v[26:27], v[28:29]
	v_mul_f64 v[28:29], v[22:23], v[26:27]
	v_fma_f64 v[20:21], -v[20:21], v[28:29], v[22:23]
	v_div_fmas_f64 v[20:21], v[20:21], v[26:27], v[28:29]
	v_div_fixup_f64 v[10:11], v[20:21], v[24:25], v[10:11]
	global_store_dwordx2 v[8:9], v[10:11], off
	v_add_co_u32_e32 v8, vcc, 8, v8
	v_addc_co_u32_e32 v9, vcc, 0, v9, vcc
	s_cbranch_scc0 .LBB2_6
; %bb.7:
                                        ; implicit-def: $vgpr4_vgpr5
                                        ; implicit-def: $vgpr18
                                        ; implicit-def: $vgpr8_vgpr9
.LBB2_8:
	s_or_saveexec_b64 s[0:1], s[0:1]
	v_add_co_u32_e32 v6, vcc, 8, v6
	v_addc_co_u32_e32 v1, vcc, 0, v7, vcc
	v_pk_mov_b32 v[10:11], s[6:7], s[6:7] op_sel:[0,1]
	s_xor_b64 exec, exec, s[0:1]
	s_cbranch_execz .LBB2_12
; %bb.9:
	s_lshl_b64 s[6:7], s[12:13], 3
	s_add_u32 s9, s4, s6
	s_addc_u32 s30, s5, s7
	s_add_u32 s9, s26, s9
	s_addc_u32 s26, s27, s30
	v_mov_b32_e32 v7, s26
	v_add_co_u32_e32 v10, vcc, s9, v18
	v_addc_co_u32_e32 v7, vcc, 0, v7, vcc
	v_add_co_u32_e32 v10, vcc, 8, v10
	v_addc_co_u32_e32 v11, vcc, 0, v7, vcc
	v_add_co_u32_e32 v7, vcc, 8, v8
	v_addc_co_u32_e32 v13, vcc, 0, v9, vcc
	v_mov_b32_e32 v9, s17
	v_add_co_u32_e32 v8, vcc, s16, v7
	v_addc_co_u32_e32 v9, vcc, v9, v13, vcc
	s_add_u32 s26, s12, -2
	s_addc_u32 s27, s13, -1
	v_mov_b32_e32 v14, s15
	v_add_co_u32_e32 v12, vcc, s14, v7
	v_addc_co_u32_e32 v13, vcc, v14, v13, vcc
	v_pk_mov_b32 v[14:15], s[22:23], s[22:23] op_sel:[0,1]
	v_mov_b32_e32 v7, s7
	s_mov_b64 s[22:23], s[26:27]
.LBB2_10:                               ; =>This Inner Loop Header: Depth=1
	global_load_dwordx2 v[16:17], v[12:13], off offset:-8
	s_add_u32 s22, s22, -1
	s_addc_u32 s23, s23, -1
	s_cmp_eq_u64 s[22:23], 0
	s_waitcnt vmcnt(0)
	v_fma_f64 v[20:21], s[20:21], v[16:17], v[14:15]
	v_div_scale_f64 v[16:17], s[30:31], v[20:21], v[20:21], -s[18:19]
	v_rcp_f64_e32 v[22:23], v[16:17]
	v_div_scale_f64 v[18:19], vcc, -s[18:19], v[20:21], -s[18:19]
	v_fma_f64 v[24:25], -v[16:17], v[22:23], 1.0
	v_fmac_f64_e32 v[22:23], v[22:23], v[24:25]
	v_fma_f64 v[24:25], -v[16:17], v[22:23], 1.0
	v_fmac_f64_e32 v[22:23], v[22:23], v[24:25]
	v_mul_f64 v[24:25], v[18:19], v[22:23]
	v_fma_f64 v[16:17], -v[16:17], v[24:25], v[18:19]
	v_div_fmas_f64 v[16:17], v[16:17], v[22:23], v[24:25]
	v_div_fixup_f64 v[16:17], v[16:17], v[20:21], -s[18:19]
	global_store_dwordx2 v[12:13], v[16:17], off
	global_load_dwordx4 v[16:19], v[10:11], off offset:-8
	s_nop 0
	global_load_dwordx2 v[22:23], v[10:11], off offset:8
	global_load_dwordx2 v[24:25], v[8:9], off offset:-8
	v_add_co_u32_e32 v12, vcc, 8, v12
	v_addc_co_u32_e32 v13, vcc, 0, v13, vcc
	v_add_co_u32_e32 v10, vcc, s6, v10
	v_addc_co_u32_e32 v11, vcc, v11, v7, vcc
	s_waitcnt vmcnt(2)
	v_mul_f64 v[16:17], s[24:25], v[16:17]
	v_fma_f64 v[16:17], v[4:5], v[18:19], -v[16:17]
	s_waitcnt vmcnt(1)
	v_fma_f64 v[16:17], -s[28:29], v[22:23], v[16:17]
	s_waitcnt vmcnt(0)
	v_fma_f64 v[16:17], -s[20:21], v[24:25], v[16:17]
	v_div_scale_f64 v[18:19], s[30:31], v[20:21], v[20:21], v[16:17]
	v_rcp_f64_e32 v[24:25], v[18:19]
	v_div_scale_f64 v[22:23], vcc, v[16:17], v[20:21], v[16:17]
	v_fma_f64 v[26:27], -v[18:19], v[24:25], 1.0
	v_fmac_f64_e32 v[24:25], v[24:25], v[26:27]
	v_fma_f64 v[26:27], -v[18:19], v[24:25], 1.0
	v_fmac_f64_e32 v[24:25], v[24:25], v[26:27]
	v_mul_f64 v[26:27], v[22:23], v[24:25]
	v_fma_f64 v[18:19], -v[18:19], v[26:27], v[22:23]
	v_div_fmas_f64 v[18:19], v[18:19], v[24:25], v[26:27]
	v_div_fixup_f64 v[16:17], v[18:19], v[20:21], v[16:17]
	global_store_dwordx2 v[8:9], v[16:17], off
	v_add_co_u32_e32 v8, vcc, 8, v8
	v_addc_co_u32_e32 v9, vcc, 0, v9, vcc
	s_cbranch_scc0 .LBB2_10
; %bb.11:
	v_pk_mov_b32 v[10:11], s[26:27], s[26:27] op_sel:[0,1]
.LBB2_12:
	s_or_b64 exec, exec, s[0:1]
	s_add_i32 s0, s36, s33
	s_add_i32 s9, s0, s37
	s_lshl_b64 s[0:1], s[8:9], 3
	s_add_u32 s6, s10, s0
	s_addc_u32 s7, s11, s1
	v_mov_b32_e32 v4, s7
	v_add_co_u32_e32 v2, vcc, s6, v2
	v_addc_co_u32_e32 v3, vcc, v4, v3, vcc
	v_mov_b32_e32 v4, 0
	v_mov_b32_e32 v5, 0x3ff00000
	v_lshlrev_b32_e32 v0, 3, v0
	global_store_dwordx2 v[2:3], v[4:5], off offset:8
	v_mov_b32_e32 v2, s5
	v_add_co_u32_e32 v0, vcc, s4, v0
	v_addc_co_u32_e32 v2, vcc, 0, v2, vcc
	v_add_co_u32_e32 v0, vcc, 16, v0
	v_addc_co_u32_e32 v2, vcc, 0, v2, vcc
	v_mul_lo_u32 v2, s12, v2
	v_mul_lo_u32 v3, s13, v0
	v_mad_u64_u32 v[4:5], s[4:5], s12, v0, -16
	v_add3_u32 v0, v3, v5, v2
	v_mov_b32_e32 v3, s17
	v_add_co_u32_e32 v2, vcc, s16, v4
	v_addc_co_u32_e32 v3, vcc, v3, v0, vcc
	v_mad_u64_u32 v[8:9], s[4:5], s12, v10, 0
	v_mov_b32_e32 v5, s15
	v_add_co_u32_e32 v4, vcc, s14, v4
	s_lshl_b64 s[4:5], s[12:13], 3
	v_addc_co_u32_e32 v5, vcc, v5, v0, vcc
	v_mul_lo_u32 v0, s13, v10
	v_mul_lo_u32 v7, s12, v11
	s_sub_u32 s4, 0, s4
	v_add3_u32 v9, v9, v7, v0
	s_subb_u32 s5, 0, s5
	v_lshlrev_b64 v[8:9], 3, v[8:9]
	v_mov_b32_e32 v0, s1
	v_mov_b32_e32 v7, s5
.LBB2_13:                               ; =>This Inner Loop Header: Depth=1
	v_add_co_u32_e32 v12, vcc, s0, v6
	global_load_dwordx2 v[10:11], v[4:5], off
	v_addc_co_u32_e32 v13, vcc, v1, v0, vcc
	global_load_dwordx2 v[14:15], v[2:3], off
	global_load_dwordx2 v[16:17], v[12:13], off
	v_add_co_u32_e32 v12, vcc, v6, v8
	v_addc_co_u32_e32 v13, vcc, v1, v9, vcc
	v_add_co_u32_e32 v2, vcc, -8, v2
	v_addc_co_u32_e32 v3, vcc, -1, v3, vcc
	v_add_co_u32_e32 v4, vcc, -8, v4
	v_addc_co_u32_e32 v5, vcc, -1, v5, vcc
	s_add_u32 s2, s2, -1
	v_add_co_u32_e32 v6, vcc, s4, v6
	s_addc_u32 s3, s3, -1
	v_addc_co_u32_e32 v1, vcc, v1, v7, vcc
	v_cmp_gt_u64_e64 s[6:7], s[2:3], 1
	s_and_b64 vcc, exec, s[6:7]
	s_waitcnt vmcnt(0)
	v_fmac_f64_e32 v[14:15], v[10:11], v[16:17]
	global_store_dwordx2 v[12:13], v[14:15], off
	s_cbranch_vccnz .LBB2_13
.LBB2_14:
	s_endpgm
	.section	.rodata,"a",@progbits
	.p2align	6, 0x0
	.amdhsa_kernel _ZN8rajaperf9polybench12poly_adi_lamILm256EZNS0_13POLYBENCH_ADI17runHipVariantImplILm256EEEvNS_9VariantIDEEUllE_EEvlT0_
		.amdhsa_group_segment_fixed_size 0
		.amdhsa_private_segment_fixed_size 0
		.amdhsa_kernarg_size 88
		.amdhsa_user_sgpr_count 6
		.amdhsa_user_sgpr_private_segment_buffer 1
		.amdhsa_user_sgpr_dispatch_ptr 0
		.amdhsa_user_sgpr_queue_ptr 0
		.amdhsa_user_sgpr_kernarg_segment_ptr 1
		.amdhsa_user_sgpr_dispatch_id 0
		.amdhsa_user_sgpr_flat_scratch_init 0
		.amdhsa_user_sgpr_kernarg_preload_length 0
		.amdhsa_user_sgpr_kernarg_preload_offset 0
		.amdhsa_user_sgpr_private_segment_size 0
		.amdhsa_uses_dynamic_stack 0
		.amdhsa_system_sgpr_private_segment_wavefront_offset 0
		.amdhsa_system_sgpr_workgroup_id_x 1
		.amdhsa_system_sgpr_workgroup_id_y 0
		.amdhsa_system_sgpr_workgroup_id_z 0
		.amdhsa_system_sgpr_workgroup_info 0
		.amdhsa_system_vgpr_workitem_id 0
		.amdhsa_next_free_vgpr 30
		.amdhsa_next_free_sgpr 40
		.amdhsa_accum_offset 32
		.amdhsa_reserve_vcc 1
		.amdhsa_reserve_flat_scratch 0
		.amdhsa_float_round_mode_32 0
		.amdhsa_float_round_mode_16_64 0
		.amdhsa_float_denorm_mode_32 3
		.amdhsa_float_denorm_mode_16_64 3
		.amdhsa_dx10_clamp 1
		.amdhsa_ieee_mode 1
		.amdhsa_fp16_overflow 0
		.amdhsa_tg_split 0
		.amdhsa_exception_fp_ieee_invalid_op 0
		.amdhsa_exception_fp_denorm_src 0
		.amdhsa_exception_fp_ieee_div_zero 0
		.amdhsa_exception_fp_ieee_overflow 0
		.amdhsa_exception_fp_ieee_underflow 0
		.amdhsa_exception_fp_ieee_inexact 0
		.amdhsa_exception_int_div_zero 0
	.end_amdhsa_kernel
	.section	.text._ZN8rajaperf9polybench12poly_adi_lamILm256EZNS0_13POLYBENCH_ADI17runHipVariantImplILm256EEEvNS_9VariantIDEEUllE_EEvlT0_,"axG",@progbits,_ZN8rajaperf9polybench12poly_adi_lamILm256EZNS0_13POLYBENCH_ADI17runHipVariantImplILm256EEEvNS_9VariantIDEEUllE_EEvlT0_,comdat
.Lfunc_end2:
	.size	_ZN8rajaperf9polybench12poly_adi_lamILm256EZNS0_13POLYBENCH_ADI17runHipVariantImplILm256EEEvNS_9VariantIDEEUllE_EEvlT0_, .Lfunc_end2-_ZN8rajaperf9polybench12poly_adi_lamILm256EZNS0_13POLYBENCH_ADI17runHipVariantImplILm256EEEvNS_9VariantIDEEUllE_EEvlT0_
                                        ; -- End function
	.section	.AMDGPU.csdata,"",@progbits
; Kernel info:
; codeLenInByte = 1620
; NumSgprs: 44
; NumVgprs: 30
; NumAgprs: 0
; TotalNumVgprs: 30
; ScratchSize: 0
; MemoryBound: 0
; FloatMode: 240
; IeeeMode: 1
; LDSByteSize: 0 bytes/workgroup (compile time only)
; SGPRBlocks: 5
; VGPRBlocks: 3
; NumSGPRsForWavesPerEU: 44
; NumVGPRsForWavesPerEU: 30
; AccumOffset: 32
; Occupancy: 8
; WaveLimiterHint : 0
; COMPUTE_PGM_RSRC2:SCRATCH_EN: 0
; COMPUTE_PGM_RSRC2:USER_SGPR: 6
; COMPUTE_PGM_RSRC2:TRAP_HANDLER: 0
; COMPUTE_PGM_RSRC2:TGID_X_EN: 1
; COMPUTE_PGM_RSRC2:TGID_Y_EN: 0
; COMPUTE_PGM_RSRC2:TGID_Z_EN: 0
; COMPUTE_PGM_RSRC2:TIDIG_COMP_CNT: 0
; COMPUTE_PGM_RSRC3_GFX90A:ACCUM_OFFSET: 7
; COMPUTE_PGM_RSRC3_GFX90A:TG_SPLIT: 0
	.section	.text._ZN8rajaperf9polybench12poly_adi_lamILm256EZNS0_13POLYBENCH_ADI17runHipVariantImplILm256EEEvNS_9VariantIDEEUllE0_EEvlT0_,"axG",@progbits,_ZN8rajaperf9polybench12poly_adi_lamILm256EZNS0_13POLYBENCH_ADI17runHipVariantImplILm256EEEvNS_9VariantIDEEUllE0_EEvlT0_,comdat
	.protected	_ZN8rajaperf9polybench12poly_adi_lamILm256EZNS0_13POLYBENCH_ADI17runHipVariantImplILm256EEEvNS_9VariantIDEEUllE0_EEvlT0_ ; -- Begin function _ZN8rajaperf9polybench12poly_adi_lamILm256EZNS0_13POLYBENCH_ADI17runHipVariantImplILm256EEEvNS_9VariantIDEEUllE0_EEvlT0_
	.globl	_ZN8rajaperf9polybench12poly_adi_lamILm256EZNS0_13POLYBENCH_ADI17runHipVariantImplILm256EEEvNS_9VariantIDEEUllE0_EEvlT0_
	.p2align	8
	.type	_ZN8rajaperf9polybench12poly_adi_lamILm256EZNS0_13POLYBENCH_ADI17runHipVariantImplILm256EEEvNS_9VariantIDEEUllE0_EEvlT0_,@function
_ZN8rajaperf9polybench12poly_adi_lamILm256EZNS0_13POLYBENCH_ADI17runHipVariantImplILm256EEEvNS_9VariantIDEEUllE0_EEvlT0_: ; @_ZN8rajaperf9polybench12poly_adi_lamILm256EZNS0_13POLYBENCH_ADI17runHipVariantImplILm256EEEvNS_9VariantIDEEUllE0_EEvlT0_
; %bb.0:
	s_load_dwordx16 s[8:23], s[4:5], 0x0
	s_mov_b32 s7, 0
	s_lshl_b64 s[2:3], s[6:7], 8
	v_add_u32_e32 v1, 1, v0
	v_mov_b32_e32 v2, s3
	v_add_co_u32_e32 v8, vcc, s2, v1
	s_waitcnt lgkmcnt(0)
	s_add_u32 s0, s8, -1
	v_addc_co_u32_e32 v9, vcc, 0, v2, vcc
	s_addc_u32 s1, s9, -1
	s_mov_b64 s[24:25], -1
	v_cmp_gt_i64_e32 vcc, s[0:1], v[8:9]
	s_and_saveexec_b64 s[0:1], vcc
	s_cbranch_execz .LBB3_14
; %bb.1:
	v_mul_lo_u32 v1, s13, v8
	v_mul_lo_u32 v2, s12, v9
	v_mad_u64_u32 v[4:5], s[0:1], s12, v8, 0
	v_add3_u32 v5, v5, v2, v1
	v_lshlrev_b64 v[6:7], 3, v[4:5]
	v_mov_b32_e32 v1, s11
	v_add_co_u32_e32 v2, vcc, s10, v6
	v_addc_co_u32_e32 v3, vcc, v1, v7, vcc
	v_mov_b32_e32 v10, 0
	v_mov_b32_e32 v11, 0x3ff00000
	;; [unrolled: 1-line block ×3, first 2 shown]
	v_add_co_u32_e32 v12, vcc, s14, v6
	global_store_dwordx2 v[2:3], v[10:11], off
	v_addc_co_u32_e32 v13, vcc, v1, v7, vcc
	v_mov_b32_e32 v11, v10
	global_store_dwordx2 v[12:13], v[10:11], off
	global_load_dwordx2 v[2:3], v[2:3], off
	v_mov_b32_e32 v1, s17
	v_cmp_gt_i64_e64 s[8:9], s[12:13], 2
	v_add_co_u32_e64 v10, s[0:1], s16, v6
	s_and_b64 vcc, exec, s[8:9]
	v_addc_co_u32_e64 v11, s[0:1], v1, v7, s[0:1]
	s_waitcnt vmcnt(0)
	global_store_dwordx2 v[10:11], v[2:3], off
	s_cbranch_vccnz .LBB3_3
; %bb.2:
	v_pk_mov_b32 v[2:3], s[12:13], s[12:13] op_sel:[0,1]
	v_mad_u64_u32 v[2:3], s[0:1], s12, v8, v[2:3]
	v_mul_lo_u32 v1, s12, v9
	v_mul_lo_u32 v8, s13, v8
	v_add3_u32 v3, v8, v3, v1
	s_cbranch_execz .LBB3_4
	s_branch .LBB3_11
.LBB3_3:
                                        ; implicit-def: $vgpr2_vgpr3
	s_andn2_b64 vcc, exec, s[24:25]
	s_cbranch_vccnz .LBB3_11
.LBB3_4:
	v_mov_b32_e32 v1, s13
	v_subrev_co_u32_e32 v2, vcc, s12, v4
	v_subb_co_u32_e32 v1, vcc, v5, v1, vcc
	s_lshl_b64 s[0:1], s[12:13], 1
	v_mov_b32_e32 v3, s1
	v_add_co_u32_e32 v2, vcc, s0, v2
	s_load_dwordx4 s[24:27], s[4:5], 0x40
	s_load_dwordx2 s[28:29], s[4:5], 0x50
	v_addc_co_u32_e32 v3, vcc, v1, v3, vcc
	s_add_u32 s4, s12, -2
	s_addc_u32 s5, s13, -1
	v_mov_b32_e32 v1, s15
	v_add_co_u32_e32 v10, vcc, s14, v6
	s_lshl_b64 s[0:1], s[6:7], 11
	v_addc_co_u32_e32 v11, vcc, v1, v7, vcc
	v_lshl_or_b32 v1, v0, 3, s0
	v_mov_b32_e32 v8, s1
	v_add_co_u32_e32 v18, vcc, 16, v1
	v_addc_co_u32_e32 v1, vcc, 0, v8, vcc
	v_pk_mov_b32 v[12:13], s[14:15], s[14:15] op_sel:[0,1]
	v_mul_lo_u32 v19, s13, v18
	v_mul_lo_u32 v20, s12, v1
	v_mad_u64_u32 v[8:9], s[0:1], s12, v18, 0
	v_mad_u64_u32 v[12:13], s[0:1], s12, v18, v[12:13]
	v_add3_u32 v1, v9, v20, v19
	v_add3_u32 v9, v19, v13, v20
	v_add_co_u32_e32 v12, vcc, -8, v12
	v_addc_co_u32_e32 v13, vcc, -1, v9, vcc
	v_mov_b32_e32 v9, s17
	v_add_co_u32_e32 v14, vcc, s16, v6
	v_pk_mov_b32 v[16:17], s[16:17], s[16:17] op_sel:[0,1]
	v_addc_co_u32_e32 v15, vcc, v9, v7, vcc
	v_mad_u64_u32 v[16:17], s[0:1], s12, v18, v[16:17]
	v_add3_u32 v9, v19, v17, v20
	v_add_co_u32_e32 v16, vcc, -8, v16
	v_addc_co_u32_e32 v17, vcc, -1, v9, vcc
	v_cmp_ge_u64_e32 vcc, v[10:11], v[16:17]
	v_cmp_ge_u64_e64 s[0:1], v[14:15], v[12:13]
	s_waitcnt lgkmcnt(0)
	v_fma_f64 v[4:5], s[24:25], 2.0, 1.0
	s_or_b64 s[0:1], vcc, s[0:1]
	s_and_saveexec_b64 s[30:31], s[0:1]
	s_xor_b64 s[0:1], exec, s[30:31]
	s_cbranch_execz .LBB3_7
; %bb.5:
	global_load_dwordx2 v[16:17], v[10:11], off
	global_load_dwordx2 v[12:13], v[14:15], off
	v_add_co_u32_e32 v9, vcc, 8, v6
	v_addc_co_u32_e32 v23, vcc, 0, v7, vcc
	v_mov_b32_e32 v6, s17
	v_add_co_u32_e32 v10, vcc, s16, v9
	v_addc_co_u32_e32 v11, vcc, v6, v23, vcc
	v_mov_b32_e32 v6, s15
	;; [unrolled: 3-line block ×3, first 2 shown]
	v_add_co_u32_e32 v7, vcc, s2, v0
	v_addc_co_u32_e32 v6, vcc, 0, v6, vcc
	v_mul_lo_u32 v18, s13, v7
	v_mul_lo_u32 v19, s12, v6
	v_mad_u64_u32 v[6:7], s[30:31], s12, v7, 0
	v_add3_u32 v7, v7, v19, v18
	v_lshlrev_b64 v[6:7], 3, v[6:7]
	v_mov_b32_e32 v18, s27
	v_add_co_u32_e32 v6, vcc, s26, v6
	v_addc_co_u32_e32 v7, vcc, v7, v18, vcc
	v_add_co_u32_e32 v18, vcc, 8, v6
	v_addc_co_u32_e32 v19, vcc, 0, v7, vcc
	v_mov_b32_e32 v6, s27
	v_add_co_u32_e32 v7, vcc, s26, v8
	v_addc_co_u32_e32 v1, vcc, v1, v6, vcc
	v_add_co_u32_e32 v20, vcc, 8, v7
	v_addc_co_u32_e32 v21, vcc, 0, v1, vcc
	v_mov_b32_e32 v1, s27
	v_add_co_u32_e32 v22, vcc, s26, v9
	v_addc_co_u32_e32 v23, vcc, v1, v23, vcc
	s_mov_b64 s[30:31], s[4:5]
                                        ; implicit-def: $vgpr1
.LBB3_6:                                ; =>This Inner Loop Header: Depth=1
	v_pk_mov_b32 v[6:7], s[22:23], s[22:23] op_sel:[0,1]
	s_waitcnt vmcnt(1)
	v_fma_f64 v[24:25], s[20:21], v[16:17], v[6:7]
	v_div_scale_f64 v[6:7], s[34:35], v[24:25], v[24:25], -s[18:19]
	v_rcp_f64_e32 v[16:17], v[6:7]
	v_div_scale_f64 v[8:9], vcc, -s[18:19], v[24:25], -s[18:19]
	s_add_u32 s30, s30, -1
	v_fma_f64 v[26:27], -v[6:7], v[16:17], 1.0
	v_fmac_f64_e32 v[16:17], v[16:17], v[26:27]
	v_fma_f64 v[26:27], -v[6:7], v[16:17], 1.0
	v_fmac_f64_e32 v[16:17], v[16:17], v[26:27]
	v_mul_f64 v[26:27], v[8:9], v[16:17]
	v_fma_f64 v[6:7], -v[6:7], v[26:27], v[8:9]
	v_div_fmas_f64 v[6:7], v[6:7], v[16:17], v[26:27]
	v_div_fixup_f64 v[16:17], v[6:7], v[24:25], -s[18:19]
	global_store_dwordx2 v[14:15], v[16:17], off
	global_load_dwordx2 v[26:27], v[18:19], off
	global_load_dwordx2 v[28:29], v[22:23], off
	global_load_dwordx2 v[30:31], v[20:21], off
	v_add_co_u32_e32 v14, vcc, 8, v14
	v_addc_co_u32_e32 v15, vcc, 0, v15, vcc
	v_add_co_u32_e32 v18, vcc, 8, v18
	v_addc_co_u32_e32 v19, vcc, 0, v19, vcc
	;; [unrolled: 2-line block ×4, first 2 shown]
	s_addc_u32 s31, s31, -1
	s_cmp_eq_u64 s[30:31], 0
                                        ; implicit-def: $vgpr6_vgpr7
                                        ; implicit-def: $vgpr8_vgpr9
	s_waitcnt vmcnt(2)
	v_mul_f64 v[26:27], s[24:25], v[26:27]
	s_waitcnt vmcnt(1)
	v_fma_f64 v[26:27], v[4:5], v[28:29], -v[26:27]
	s_waitcnt vmcnt(0)
	v_fma_f64 v[26:27], -s[28:29], v[30:31], v[26:27]
	v_fma_f64 v[12:13], -s[20:21], v[12:13], v[26:27]
	v_div_scale_f64 v[26:27], s[34:35], v[24:25], v[24:25], v[12:13]
	v_rcp_f64_e32 v[30:31], v[26:27]
	v_div_scale_f64 v[28:29], vcc, v[12:13], v[24:25], v[12:13]
	v_fma_f64 v[32:33], -v[26:27], v[30:31], 1.0
	v_fmac_f64_e32 v[30:31], v[30:31], v[32:33]
	v_fma_f64 v[32:33], -v[26:27], v[30:31], 1.0
	v_fmac_f64_e32 v[30:31], v[30:31], v[32:33]
	v_mul_f64 v[32:33], v[28:29], v[30:31]
	v_fma_f64 v[26:27], -v[26:27], v[32:33], v[28:29]
	v_div_fmas_f64 v[26:27], v[26:27], v[30:31], v[32:33]
	v_div_fixup_f64 v[12:13], v[26:27], v[24:25], v[12:13]
	global_store_dwordx2 v[10:11], v[12:13], off
	v_add_co_u32_e32 v10, vcc, 8, v10
	v_addc_co_u32_e32 v11, vcc, 0, v11, vcc
	s_cbranch_scc0 .LBB3_6
.LBB3_7:
	s_andn2_saveexec_b64 s[0:1], s[0:1]
	s_cbranch_execz .LBB3_10
; %bb.8:
	v_add_co_u32_e32 v9, vcc, 8, v6
	v_addc_co_u32_e32 v13, vcc, 0, v7, vcc
	v_mov_b32_e32 v7, s27
	v_add_co_u32_e32 v6, vcc, s26, v9
	v_addc_co_u32_e32 v7, vcc, v7, v13, vcc
	v_mov_b32_e32 v11, s17
	v_add_co_u32_e32 v10, vcc, s16, v9
	v_addc_co_u32_e32 v11, vcc, v11, v13, vcc
	v_mov_b32_e32 v14, s15
	v_add_co_u32_e32 v12, vcc, s14, v9
	v_addc_co_u32_e32 v13, vcc, v14, v13, vcc
	v_mov_b32_e32 v9, s3
	v_add_co_u32_e32 v14, vcc, s2, v0
	v_addc_co_u32_e32 v9, vcc, 0, v9, vcc
	v_mul_lo_u32 v16, s13, v14
	v_mul_lo_u32 v9, s12, v9
	v_mad_u64_u32 v[14:15], s[30:31], s12, v14, 0
	v_add3_u32 v15, v15, v9, v16
	v_lshlrev_b64 v[14:15], 3, v[14:15]
	v_mov_b32_e32 v9, s27
	v_add_co_u32_e32 v14, vcc, s26, v14
	v_addc_co_u32_e32 v9, vcc, v15, v9, vcc
	v_add_co_u32_e32 v14, vcc, 8, v14
	v_addc_co_u32_e32 v15, vcc, 0, v9, vcc
	v_mov_b32_e32 v9, s27
	v_add_co_u32_e32 v8, vcc, s26, v8
	v_addc_co_u32_e32 v1, vcc, v1, v9, vcc
	v_add_co_u32_e32 v8, vcc, 8, v8
	v_addc_co_u32_e32 v9, vcc, 0, v1, vcc
	v_pk_mov_b32 v[16:17], s[22:23], s[22:23] op_sel:[0,1]
.LBB3_9:                                ; =>This Inner Loop Header: Depth=1
	global_load_dwordx2 v[18:19], v[12:13], off offset:-8
	s_add_u32 s4, s4, -1
	s_addc_u32 s5, s5, -1
	s_cmp_eq_u64 s[4:5], 0
	s_waitcnt vmcnt(0)
	v_fma_f64 v[18:19], s[20:21], v[18:19], v[16:17]
	v_div_scale_f64 v[20:21], s[22:23], v[18:19], v[18:19], -s[18:19]
	v_rcp_f64_e32 v[24:25], v[20:21]
	v_div_scale_f64 v[22:23], vcc, -s[18:19], v[18:19], -s[18:19]
	v_fma_f64 v[26:27], -v[20:21], v[24:25], 1.0
	v_fmac_f64_e32 v[24:25], v[24:25], v[26:27]
	v_fma_f64 v[26:27], -v[20:21], v[24:25], 1.0
	v_fmac_f64_e32 v[24:25], v[24:25], v[26:27]
	v_mul_f64 v[26:27], v[22:23], v[24:25]
	v_fma_f64 v[20:21], -v[20:21], v[26:27], v[22:23]
	v_div_fmas_f64 v[20:21], v[20:21], v[24:25], v[26:27]
	v_div_fixup_f64 v[20:21], v[20:21], v[18:19], -s[18:19]
	global_store_dwordx2 v[12:13], v[20:21], off
	global_load_dwordx2 v[20:21], v[14:15], off
	s_nop 0
	global_load_dwordx2 v[22:23], v[6:7], off
	global_load_dwordx2 v[24:25], v[8:9], off
	global_load_dwordx2 v[26:27], v[10:11], off offset:-8
	v_add_co_u32_e32 v12, vcc, 8, v12
	v_addc_co_u32_e32 v13, vcc, 0, v13, vcc
	v_add_co_u32_e32 v6, vcc, 8, v6
	v_addc_co_u32_e32 v7, vcc, 0, v7, vcc
	;; [unrolled: 2-line block ×4, first 2 shown]
	s_waitcnt vmcnt(3)
	v_mul_f64 v[20:21], s[24:25], v[20:21]
	s_waitcnt vmcnt(2)
	v_fma_f64 v[20:21], v[4:5], v[22:23], -v[20:21]
	s_waitcnt vmcnt(1)
	v_fma_f64 v[20:21], -s[28:29], v[24:25], v[20:21]
	s_waitcnt vmcnt(0)
	v_fma_f64 v[20:21], -s[20:21], v[26:27], v[20:21]
	v_div_scale_f64 v[22:23], s[22:23], v[18:19], v[18:19], v[20:21]
	v_rcp_f64_e32 v[26:27], v[22:23]
	v_div_scale_f64 v[24:25], vcc, v[20:21], v[18:19], v[20:21]
	v_fma_f64 v[28:29], -v[22:23], v[26:27], 1.0
	v_fmac_f64_e32 v[26:27], v[26:27], v[28:29]
	v_fma_f64 v[28:29], -v[22:23], v[26:27], 1.0
	v_fmac_f64_e32 v[26:27], v[26:27], v[28:29]
	v_mul_f64 v[28:29], v[24:25], v[26:27]
	v_fma_f64 v[22:23], -v[22:23], v[28:29], v[24:25]
	v_div_fmas_f64 v[22:23], v[22:23], v[26:27], v[28:29]
	v_div_fixup_f64 v[18:19], v[22:23], v[18:19], v[20:21]
	global_store_dwordx2 v[10:11], v[18:19], off
	v_add_co_u32_e32 v10, vcc, 8, v10
	v_addc_co_u32_e32 v11, vcc, 0, v11, vcc
	s_cbranch_scc0 .LBB3_9
.LBB3_10:
	s_or_b64 exec, exec, s[0:1]
.LBB3_11:
	v_lshlrev_b64 v[2:3], 3, v[2:3]
	v_mov_b32_e32 v1, s11
	v_add_co_u32_e32 v2, vcc, s10, v2
	v_addc_co_u32_e32 v3, vcc, v1, v3, vcc
	v_mov_b32_e32 v4, 0
	v_mov_b32_e32 v5, 0x3ff00000
	s_andn2_b64 vcc, exec, s[8:9]
	global_store_dwordx2 v[2:3], v[4:5], off offset:-8
	s_cbranch_vccnz .LBB3_14
; %bb.12:
	v_mov_b32_e32 v1, s3
	v_add_co_u32_e32 v2, vcc, s2, v0
	v_addc_co_u32_e32 v1, vcc, 0, v1, vcc
	v_add_co_u32_e32 v2, vcc, 2, v2
	v_addc_co_u32_e32 v1, vcc, 0, v1, vcc
	v_mul_lo_u32 v4, s13, v2
	v_mul_lo_u32 v1, s12, v1
	v_mad_u64_u32 v[2:3], s[0:1], s12, v2, 0
	v_add3_u32 v3, v3, v1, v4
	v_lshlrev_b64 v[2:3], 3, v[2:3]
	v_mov_b32_e32 v8, s11
	v_add_co_u32_e32 v2, vcc, s10, v2
	v_addc_co_u32_e32 v3, vcc, v8, v3, vcc
	global_load_dwordx2 v[2:3], v[2:3], off offset:-8
	s_lshl_b64 s[0:1], s[6:7], 11
	v_lshl_or_b32 v0, v0, 3, s0
	v_mov_b32_e32 v1, s1
	v_add_co_u32_e32 v0, vcc, 16, v0
	v_addc_co_u32_e32 v1, vcc, 0, v1, vcc
	v_mul_lo_u32 v1, s12, v1
	v_mul_lo_u32 v4, s13, v0
	v_mad_u64_u32 v[6:7], s[0:1], s12, v0, -16
	v_add3_u32 v7, v4, v7, v1
	v_mov_b32_e32 v1, s17
	v_add_co_u32_e32 v0, vcc, s16, v6
	v_addc_co_u32_e32 v1, vcc, v1, v7, vcc
	v_mov_b32_e32 v5, s15
	v_add_co_u32_e32 v4, vcc, s14, v6
	v_addc_co_u32_e32 v5, vcc, v5, v7, vcc
	v_add_co_u32_e32 v6, vcc, s10, v6
	s_add_u32 s2, s12, -1
	v_addc_co_u32_e32 v7, vcc, v8, v7, vcc
	s_addc_u32 s3, s13, -1
.LBB3_13:                               ; =>This Inner Loop Header: Depth=1
	global_load_dwordx2 v[8:9], v[4:5], off
	global_load_dwordx2 v[10:11], v[0:1], off
	v_add_co_u32_e32 v0, vcc, -8, v0
	v_addc_co_u32_e32 v1, vcc, -1, v1, vcc
	s_add_u32 s2, s2, -1
	v_add_co_u32_e32 v4, vcc, -8, v4
	s_addc_u32 s3, s3, -1
	v_addc_co_u32_e32 v5, vcc, -1, v5, vcc
	v_cmp_gt_u64_e64 s[0:1], s[2:3], 1
	s_and_b64 vcc, exec, s[0:1]
	s_waitcnt vmcnt(0)
	v_fmac_f64_e32 v[10:11], v[8:9], v[2:3]
	global_store_dwordx2 v[6:7], v[10:11], off
	v_add_co_u32_e64 v6, s[0:1], -8, v6
	v_addc_co_u32_e64 v7, s[0:1], -1, v7, s[0:1]
	v_pk_mov_b32 v[2:3], v[10:11], v[10:11] op_sel:[0,1]
	s_cbranch_vccnz .LBB3_13
.LBB3_14:
	s_endpgm
	.section	.rodata,"a",@progbits
	.p2align	6, 0x0
	.amdhsa_kernel _ZN8rajaperf9polybench12poly_adi_lamILm256EZNS0_13POLYBENCH_ADI17runHipVariantImplILm256EEEvNS_9VariantIDEEUllE0_EEvlT0_
		.amdhsa_group_segment_fixed_size 0
		.amdhsa_private_segment_fixed_size 0
		.amdhsa_kernarg_size 88
		.amdhsa_user_sgpr_count 6
		.amdhsa_user_sgpr_private_segment_buffer 1
		.amdhsa_user_sgpr_dispatch_ptr 0
		.amdhsa_user_sgpr_queue_ptr 0
		.amdhsa_user_sgpr_kernarg_segment_ptr 1
		.amdhsa_user_sgpr_dispatch_id 0
		.amdhsa_user_sgpr_flat_scratch_init 0
		.amdhsa_user_sgpr_kernarg_preload_length 0
		.amdhsa_user_sgpr_kernarg_preload_offset 0
		.amdhsa_user_sgpr_private_segment_size 0
		.amdhsa_uses_dynamic_stack 0
		.amdhsa_system_sgpr_private_segment_wavefront_offset 0
		.amdhsa_system_sgpr_workgroup_id_x 1
		.amdhsa_system_sgpr_workgroup_id_y 0
		.amdhsa_system_sgpr_workgroup_id_z 0
		.amdhsa_system_sgpr_workgroup_info 0
		.amdhsa_system_vgpr_workitem_id 0
		.amdhsa_next_free_vgpr 34
		.amdhsa_next_free_sgpr 36
		.amdhsa_accum_offset 36
		.amdhsa_reserve_vcc 1
		.amdhsa_reserve_flat_scratch 0
		.amdhsa_float_round_mode_32 0
		.amdhsa_float_round_mode_16_64 0
		.amdhsa_float_denorm_mode_32 3
		.amdhsa_float_denorm_mode_16_64 3
		.amdhsa_dx10_clamp 1
		.amdhsa_ieee_mode 1
		.amdhsa_fp16_overflow 0
		.amdhsa_tg_split 0
		.amdhsa_exception_fp_ieee_invalid_op 0
		.amdhsa_exception_fp_denorm_src 0
		.amdhsa_exception_fp_ieee_div_zero 0
		.amdhsa_exception_fp_ieee_overflow 0
		.amdhsa_exception_fp_ieee_underflow 0
		.amdhsa_exception_fp_ieee_inexact 0
		.amdhsa_exception_int_div_zero 0
	.end_amdhsa_kernel
	.section	.text._ZN8rajaperf9polybench12poly_adi_lamILm256EZNS0_13POLYBENCH_ADI17runHipVariantImplILm256EEEvNS_9VariantIDEEUllE0_EEvlT0_,"axG",@progbits,_ZN8rajaperf9polybench12poly_adi_lamILm256EZNS0_13POLYBENCH_ADI17runHipVariantImplILm256EEEvNS_9VariantIDEEUllE0_EEvlT0_,comdat
.Lfunc_end3:
	.size	_ZN8rajaperf9polybench12poly_adi_lamILm256EZNS0_13POLYBENCH_ADI17runHipVariantImplILm256EEEvNS_9VariantIDEEUllE0_EEvlT0_, .Lfunc_end3-_ZN8rajaperf9polybench12poly_adi_lamILm256EZNS0_13POLYBENCH_ADI17runHipVariantImplILm256EEEvNS_9VariantIDEEUllE0_EEvlT0_
                                        ; -- End function
	.section	.AMDGPU.csdata,"",@progbits
; Kernel info:
; codeLenInByte = 1780
; NumSgprs: 40
; NumVgprs: 34
; NumAgprs: 0
; TotalNumVgprs: 34
; ScratchSize: 0
; MemoryBound: 0
; FloatMode: 240
; IeeeMode: 1
; LDSByteSize: 0 bytes/workgroup (compile time only)
; SGPRBlocks: 4
; VGPRBlocks: 4
; NumSGPRsForWavesPerEU: 40
; NumVGPRsForWavesPerEU: 34
; AccumOffset: 36
; Occupancy: 8
; WaveLimiterHint : 0
; COMPUTE_PGM_RSRC2:SCRATCH_EN: 0
; COMPUTE_PGM_RSRC2:USER_SGPR: 6
; COMPUTE_PGM_RSRC2:TRAP_HANDLER: 0
; COMPUTE_PGM_RSRC2:TGID_X_EN: 1
; COMPUTE_PGM_RSRC2:TGID_Y_EN: 0
; COMPUTE_PGM_RSRC2:TGID_Z_EN: 0
; COMPUTE_PGM_RSRC2:TIDIG_COMP_CNT: 0
; COMPUTE_PGM_RSRC3_GFX90A:ACCUM_OFFSET: 8
; COMPUTE_PGM_RSRC3_GFX90A:TG_SPLIT: 0
	.section	.text._ZN4RAJA8internal22HipKernelLauncherFixedILi256ENS0_8LoopDataIN4camp5tupleIJNS_4SpanINS_9Iterators16numeric_iteratorIllPlEElEESA_NS5_INS6_24strided_numeric_iteratorIllS8_EElEEEEENS4_IJEEENS3_9resources2v13HipEJZN8rajaperf9polybench13POLYBENCH_ADI17runHipVariantImplILm256EEEvNSJ_9VariantIDEEUllE1_ZNSM_ILm256EEEvSN_EUlllE_ZNSM_ILm256EEEvSN_EUllE2_ZNSM_ILm256EEEvSN_EUlllE0_EEENS0_24HipStatementListExecutorISS_NS3_4listIJNS_9statement3ForILl0ENS_6policy3hip11hip_indexerINS_17iteration_mapping6DirectELNS_23kernel_sync_requirementE0EJNS_3hip11IndexGlobalILNS_9named_dimE0ELi256ELi0EEEEEEJNSV_6LambdaILl0EJNSU_IJNS0_9LambdaArgINS0_16lambda_arg_seg_tELl0EEEEEEEEENSW_ILl1ENSX_10sequential8seq_execEJNS18_ILl1EJNSU_IJS1B_NS19_IS1A_Ll1EEEEEEEEEEEENS18_ILl2EJS1C_EEENSW_ILl2ES1F_JNS18_ILl3EJNSU_IJS1B_NS19_IS1A_Ll2EEEEEEEEEEEEEEEEEENS0_9LoopTypesINSU_IJvvvEEES1S_EEEEEEvT0_,"axG",@progbits,_ZN4RAJA8internal22HipKernelLauncherFixedILi256ENS0_8LoopDataIN4camp5tupleIJNS_4SpanINS_9Iterators16numeric_iteratorIllPlEElEESA_NS5_INS6_24strided_numeric_iteratorIllS8_EElEEEEENS4_IJEEENS3_9resources2v13HipEJZN8rajaperf9polybench13POLYBENCH_ADI17runHipVariantImplILm256EEEvNSJ_9VariantIDEEUllE1_ZNSM_ILm256EEEvSN_EUlllE_ZNSM_ILm256EEEvSN_EUllE2_ZNSM_ILm256EEEvSN_EUlllE0_EEENS0_24HipStatementListExecutorISS_NS3_4listIJNS_9statement3ForILl0ENS_6policy3hip11hip_indexerINS_17iteration_mapping6DirectELNS_23kernel_sync_requirementE0EJNS_3hip11IndexGlobalILNS_9named_dimE0ELi256ELi0EEEEEEJNSV_6LambdaILl0EJNSU_IJNS0_9LambdaArgINS0_16lambda_arg_seg_tELl0EEEEEEEEENSW_ILl1ENSX_10sequential8seq_execEJNS18_ILl1EJNSU_IJS1B_NS19_IS1A_Ll1EEEEEEEEEEEENS18_ILl2EJS1C_EEENSW_ILl2ES1F_JNS18_ILl3EJNSU_IJS1B_NS19_IS1A_Ll2EEEEEEEEEEEEEEEEEENS0_9LoopTypesINSU_IJvvvEEES1S_EEEEEEvT0_,comdat
	.protected	_ZN4RAJA8internal22HipKernelLauncherFixedILi256ENS0_8LoopDataIN4camp5tupleIJNS_4SpanINS_9Iterators16numeric_iteratorIllPlEElEESA_NS5_INS6_24strided_numeric_iteratorIllS8_EElEEEEENS4_IJEEENS3_9resources2v13HipEJZN8rajaperf9polybench13POLYBENCH_ADI17runHipVariantImplILm256EEEvNSJ_9VariantIDEEUllE1_ZNSM_ILm256EEEvSN_EUlllE_ZNSM_ILm256EEEvSN_EUllE2_ZNSM_ILm256EEEvSN_EUlllE0_EEENS0_24HipStatementListExecutorISS_NS3_4listIJNS_9statement3ForILl0ENS_6policy3hip11hip_indexerINS_17iteration_mapping6DirectELNS_23kernel_sync_requirementE0EJNS_3hip11IndexGlobalILNS_9named_dimE0ELi256ELi0EEEEEEJNSV_6LambdaILl0EJNSU_IJNS0_9LambdaArgINS0_16lambda_arg_seg_tELl0EEEEEEEEENSW_ILl1ENSX_10sequential8seq_execEJNS18_ILl1EJNSU_IJS1B_NS19_IS1A_Ll1EEEEEEEEEEEENS18_ILl2EJS1C_EEENSW_ILl2ES1F_JNS18_ILl3EJNSU_IJS1B_NS19_IS1A_Ll2EEEEEEEEEEEEEEEEEENS0_9LoopTypesINSU_IJvvvEEES1S_EEEEEEvT0_ ; -- Begin function _ZN4RAJA8internal22HipKernelLauncherFixedILi256ENS0_8LoopDataIN4camp5tupleIJNS_4SpanINS_9Iterators16numeric_iteratorIllPlEElEESA_NS5_INS6_24strided_numeric_iteratorIllS8_EElEEEEENS4_IJEEENS3_9resources2v13HipEJZN8rajaperf9polybench13POLYBENCH_ADI17runHipVariantImplILm256EEEvNSJ_9VariantIDEEUllE1_ZNSM_ILm256EEEvSN_EUlllE_ZNSM_ILm256EEEvSN_EUllE2_ZNSM_ILm256EEEvSN_EUlllE0_EEENS0_24HipStatementListExecutorISS_NS3_4listIJNS_9statement3ForILl0ENS_6policy3hip11hip_indexerINS_17iteration_mapping6DirectELNS_23kernel_sync_requirementE0EJNS_3hip11IndexGlobalILNS_9named_dimE0ELi256ELi0EEEEEEJNSV_6LambdaILl0EJNSU_IJNS0_9LambdaArgINS0_16lambda_arg_seg_tELl0EEEEEEEEENSW_ILl1ENSX_10sequential8seq_execEJNS18_ILl1EJNSU_IJS1B_NS19_IS1A_Ll1EEEEEEEEEEEENS18_ILl2EJS1C_EEENSW_ILl2ES1F_JNS18_ILl3EJNSU_IJS1B_NS19_IS1A_Ll2EEEEEEEEEEEEEEEEEENS0_9LoopTypesINSU_IJvvvEEES1S_EEEEEEvT0_
	.globl	_ZN4RAJA8internal22HipKernelLauncherFixedILi256ENS0_8LoopDataIN4camp5tupleIJNS_4SpanINS_9Iterators16numeric_iteratorIllPlEElEESA_NS5_INS6_24strided_numeric_iteratorIllS8_EElEEEEENS4_IJEEENS3_9resources2v13HipEJZN8rajaperf9polybench13POLYBENCH_ADI17runHipVariantImplILm256EEEvNSJ_9VariantIDEEUllE1_ZNSM_ILm256EEEvSN_EUlllE_ZNSM_ILm256EEEvSN_EUllE2_ZNSM_ILm256EEEvSN_EUlllE0_EEENS0_24HipStatementListExecutorISS_NS3_4listIJNS_9statement3ForILl0ENS_6policy3hip11hip_indexerINS_17iteration_mapping6DirectELNS_23kernel_sync_requirementE0EJNS_3hip11IndexGlobalILNS_9named_dimE0ELi256ELi0EEEEEEJNSV_6LambdaILl0EJNSU_IJNS0_9LambdaArgINS0_16lambda_arg_seg_tELl0EEEEEEEEENSW_ILl1ENSX_10sequential8seq_execEJNS18_ILl1EJNSU_IJS1B_NS19_IS1A_Ll1EEEEEEEEEEEENS18_ILl2EJS1C_EEENSW_ILl2ES1F_JNS18_ILl3EJNSU_IJS1B_NS19_IS1A_Ll2EEEEEEEEEEEEEEEEEENS0_9LoopTypesINSU_IJvvvEEES1S_EEEEEEvT0_
	.p2align	8
	.type	_ZN4RAJA8internal22HipKernelLauncherFixedILi256ENS0_8LoopDataIN4camp5tupleIJNS_4SpanINS_9Iterators16numeric_iteratorIllPlEElEESA_NS5_INS6_24strided_numeric_iteratorIllS8_EElEEEEENS4_IJEEENS3_9resources2v13HipEJZN8rajaperf9polybench13POLYBENCH_ADI17runHipVariantImplILm256EEEvNSJ_9VariantIDEEUllE1_ZNSM_ILm256EEEvSN_EUlllE_ZNSM_ILm256EEEvSN_EUllE2_ZNSM_ILm256EEEvSN_EUlllE0_EEENS0_24HipStatementListExecutorISS_NS3_4listIJNS_9statement3ForILl0ENS_6policy3hip11hip_indexerINS_17iteration_mapping6DirectELNS_23kernel_sync_requirementE0EJNS_3hip11IndexGlobalILNS_9named_dimE0ELi256ELi0EEEEEEJNSV_6LambdaILl0EJNSU_IJNS0_9LambdaArgINS0_16lambda_arg_seg_tELl0EEEEEEEEENSW_ILl1ENSX_10sequential8seq_execEJNS18_ILl1EJNSU_IJS1B_NS19_IS1A_Ll1EEEEEEEEEEEENS18_ILl2EJS1C_EEENSW_ILl2ES1F_JNS18_ILl3EJNSU_IJS1B_NS19_IS1A_Ll2EEEEEEEEEEEEEEEEEENS0_9LoopTypesINSU_IJvvvEEES1S_EEEEEEvT0_,@function
_ZN4RAJA8internal22HipKernelLauncherFixedILi256ENS0_8LoopDataIN4camp5tupleIJNS_4SpanINS_9Iterators16numeric_iteratorIllPlEElEESA_NS5_INS6_24strided_numeric_iteratorIllS8_EElEEEEENS4_IJEEENS3_9resources2v13HipEJZN8rajaperf9polybench13POLYBENCH_ADI17runHipVariantImplILm256EEEvNSJ_9VariantIDEEUllE1_ZNSM_ILm256EEEvSN_EUlllE_ZNSM_ILm256EEEvSN_EUllE2_ZNSM_ILm256EEEvSN_EUlllE0_EEENS0_24HipStatementListExecutorISS_NS3_4listIJNS_9statement3ForILl0ENS_6policy3hip11hip_indexerINS_17iteration_mapping6DirectELNS_23kernel_sync_requirementE0EJNS_3hip11IndexGlobalILNS_9named_dimE0ELi256ELi0EEEEEEJNSV_6LambdaILl0EJNSU_IJNS0_9LambdaArgINS0_16lambda_arg_seg_tELl0EEEEEEEEENSW_ILl1ENSX_10sequential8seq_execEJNS18_ILl1EJNSU_IJS1B_NS19_IS1A_Ll1EEEEEEEEEEEENS18_ILl2EJS1C_EEENSW_ILl2ES1F_JNS18_ILl3EJNSU_IJS1B_NS19_IS1A_Ll2EEEEEEEEEEEEEEEEEENS0_9LoopTypesINSU_IJvvvEEES1S_EEEEEEvT0_: ; @_ZN4RAJA8internal22HipKernelLauncherFixedILi256ENS0_8LoopDataIN4camp5tupleIJNS_4SpanINS_9Iterators16numeric_iteratorIllPlEElEESA_NS5_INS6_24strided_numeric_iteratorIllS8_EElEEEEENS4_IJEEENS3_9resources2v13HipEJZN8rajaperf9polybench13POLYBENCH_ADI17runHipVariantImplILm256EEEvNSJ_9VariantIDEEUllE1_ZNSM_ILm256EEEvSN_EUlllE_ZNSM_ILm256EEEvSN_EUllE2_ZNSM_ILm256EEEvSN_EUlllE0_EEENS0_24HipStatementListExecutorISS_NS3_4listIJNS_9statement3ForILl0ENS_6policy3hip11hip_indexerINS_17iteration_mapping6DirectELNS_23kernel_sync_requirementE0EJNS_3hip11IndexGlobalILNS_9named_dimE0ELi256ELi0EEEEEEJNSV_6LambdaILl0EJNSU_IJNS0_9LambdaArgINS0_16lambda_arg_seg_tELl0EEEEEEEEENSW_ILl1ENSX_10sequential8seq_execEJNS18_ILl1EJNSU_IJS1B_NS19_IS1A_Ll1EEEEEEEEEEEENS18_ILl2EJS1C_EEENSW_ILl2ES1F_JNS18_ILl3EJNSU_IJS1B_NS19_IS1A_Ll2EEEEEEEEEEEEEEEEEENS0_9LoopTypesINSU_IJvvvEEES1S_EEEEEEvT0_
; %bb.0:
	s_load_dwordx16 s[8:23], s[4:5], 0x0
	s_mov_b32 s7, 0
	s_waitcnt lgkmcnt(0)
	s_sub_u32 s0, s10, s8
	s_subb_u32 s1, s11, s9
	s_lshl_b64 s[2:3], s[6:7], 8
	v_or_b32_e32 v0, s2, v0
	v_mov_b32_e32 v1, s3
	v_cmp_gt_i64_e64 s[0:1], s[0:1], v[0:1]
	s_and_saveexec_b64 s[2:3], s[0:1]
	s_cbranch_execz .LBB4_2
; %bb.1:
	s_load_dwordx2 s[6:7], s[4:5], 0xb8
	s_load_dwordx2 s[10:11], s[4:5], 0xa0
	;; [unrolled: 1-line block ×3, first 2 shown]
	v_mov_b32_e32 v3, s9
	v_add_co_u32_e32 v2, vcc, s8, v0
	v_addc_co_u32_e32 v3, vcc, v3, v1, vcc
	v_lshlrev_b64 v[4:5], 3, v[2:3]
	s_waitcnt lgkmcnt(0)
	v_mov_b32_e32 v6, s25
	v_add_co_u32_e32 v4, vcc, s24, v4
	v_addc_co_u32_e32 v5, vcc, v6, v5, vcc
	v_mov_b32_e32 v6, 0
	v_mov_b32_e32 v7, 0x3ff00000
	global_store_dwordx2 v[4:5], v[6:7], off
	v_mul_lo_u32 v7, s7, v2
	v_mul_lo_u32 v10, s6, v3
	v_mad_u64_u32 v[8:9], s[6:7], s6, v2, 0
	v_add3_u32 v9, v9, v10, v7
	v_lshlrev_b64 v[8:9], 3, v[8:9]
	v_mov_b32_e32 v7, s11
	v_add_co_u32_e32 v8, vcc, s10, v8
	v_addc_co_u32_e32 v9, vcc, v7, v9, vcc
	v_mov_b32_e32 v7, v6
	global_store_dwordx2 v[8:9], v[6:7], off
	global_load_dwordx2 v[4:5], v[4:5], off
	s_load_dwordx2 s[6:7], s[4:5], 0x100
	s_load_dwordx2 s[10:11], s[4:5], 0xe8
	s_waitcnt lgkmcnt(0)
	v_mul_lo_u32 v6, s7, v2
	v_mul_lo_u32 v7, s6, v3
	v_mad_u64_u32 v[2:3], s[6:7], s6, v2, 0
	v_add3_u32 v3, v3, v7, v6
	v_lshlrev_b64 v[2:3], 3, v[2:3]
	v_mov_b32_e32 v6, s11
	v_add_co_u32_e32 v2, vcc, s10, v2
	v_addc_co_u32_e32 v3, vcc, v6, v3, vcc
	s_waitcnt vmcnt(0)
	global_store_dwordx2 v[2:3], v[4:5], off
.LBB4_2:
	s_or_b64 exec, exec, s[2:3]
	s_load_dwordx4 s[36:39], s[4:5], 0x228
	s_sub_u32 s2, s14, s12
	s_subb_u32 s3, s15, s13
	v_cmp_lt_i64_e64 s[6:7], s[2:3], 1
	s_and_b64 vcc, exec, s[6:7]
	s_cbranch_vccnz .LBB4_7
; %bb.3:
	s_load_dwordx2 s[10:11], s[4:5], 0x130
	s_load_dwordx2 s[14:15], s[4:5], 0x148
	;; [unrolled: 1-line block ×3, first 2 shown]
	s_load_dwordx8 s[24:31], s[4:5], 0x178
	s_load_dwordx2 s[34:35], s[4:5], 0x1a8
	s_load_dwordx4 s[40:43], s[4:5], 0x1d8
	v_mov_b32_e32 v2, s9
	v_add_co_u32_e32 v8, vcc, s8, v0
	v_addc_co_u32_e32 v9, vcc, v2, v1, vcc
	s_waitcnt lgkmcnt(0)
	v_mul_lo_u32 v6, s35, v8
	v_mul_lo_u32 v7, s34, v9
	v_mad_u64_u32 v[4:5], s[34:35], s34, v8, 0
	s_lshl_b64 s[34:35], s[12:13], 3
	v_add3_u32 v5, v5, v7, v6
	s_add_u32 s30, s30, s34
	v_lshlrev_b64 v[4:5], 3, v[4:5]
	s_addc_u32 s31, s31, s35
	v_mov_b32_e32 v6, s31
	v_add_co_u32_e32 v4, vcc, s30, v4
	s_mul_i32 s30, s12, s7
	s_mul_hi_u32 s31, s12, s6
	s_add_i32 s30, s31, s30
	s_mul_i32 s13, s13, s6
	s_add_i32 s13, s30, s13
	s_mul_i32 s12, s12, s6
	v_addc_co_u32_e32 v5, vcc, v6, v5, vcc
	s_lshl_b64 s[12:13], s[12:13], 3
	v_add_co_u32_e32 v4, vcc, -8, v4
	s_add_u32 s12, s42, s12
	v_addc_co_u32_e32 v5, vcc, -1, v5, vcc
	v_lshlrev_b64 v[6:7], 3, v[8:9]
	s_addc_u32 s13, s43, s13
	v_mov_b32_e32 v10, s13
	v_add_co_u32_e32 v6, vcc, s12, v6
	v_addc_co_u32_e32 v7, vcc, v10, v7, vcc
	s_lshl_b64 s[6:7], s[6:7], 3
	v_mul_lo_u32 v10, s15, v8
	v_mul_lo_u32 v11, s14, v9
	v_mad_u64_u32 v[8:9], s[12:13], s14, v8, 0
	v_add3_u32 v9, v9, v11, v10
	s_add_u32 s10, s10, s34
	v_lshlrev_b64 v[8:9], 3, v[8:9]
	s_addc_u32 s11, s11, s35
	v_mov_b32_e32 v10, s11
	v_add_co_u32_e32 v8, vcc, s10, v8
	v_addc_co_u32_e32 v9, vcc, v10, v9, vcc
	v_add_co_u32_e32 v8, vcc, -8, v8
	v_fma_f64 v[2:3], s[40:41], 2.0, 1.0
	v_addc_co_u32_e32 v9, vcc, -1, v9, vcc
	s_mov_b64 s[10:11], 0
	s_branch .LBB4_5
.LBB4_4:                                ;   in Loop: Header=BB4_5 Depth=1
	s_or_b64 exec, exec, s[12:13]
	v_add_co_u32_e32 v4, vcc, 8, v4
	v_addc_co_u32_e32 v5, vcc, 0, v5, vcc
	v_mov_b32_e32 v10, s7
	v_add_co_u32_e32 v6, vcc, s6, v6
	v_addc_co_u32_e32 v7, vcc, v7, v10, vcc
	s_add_u32 s10, s10, 1
	v_add_co_u32_e32 v8, vcc, 8, v8
	s_addc_u32 s11, s11, 0
	v_addc_co_u32_e32 v9, vcc, 0, v9, vcc
	v_pk_mov_b32 v[10:11], s[2:3], s[2:3] op_sel:[0,1]
	v_cmp_lt_i64_e32 vcc, s[10:11], v[10:11]
	s_cbranch_vccz .LBB4_7
.LBB4_5:                                ; =>This Inner Loop Header: Depth=1
	s_and_saveexec_b64 s[12:13], s[0:1]
	s_cbranch_execz .LBB4_4
; %bb.6:                                ;   in Loop: Header=BB4_5 Depth=1
	global_load_dwordx2 v[10:11], v[8:9], off
	v_pk_mov_b32 v[12:13], s[28:29], s[28:29] op_sel:[0,1]
	s_waitcnt vmcnt(0)
	v_fma_f64 v[14:15], s[26:27], v[10:11], v[12:13]
	v_div_scale_f64 v[10:11], s[14:15], v[14:15], v[14:15], -s[24:25]
	v_rcp_f64_e32 v[12:13], v[10:11]
	v_div_scale_f64 v[16:17], vcc, -s[24:25], v[14:15], -s[24:25]
	v_fma_f64 v[18:19], -v[10:11], v[12:13], 1.0
	v_fmac_f64_e32 v[12:13], v[12:13], v[18:19]
	v_fma_f64 v[18:19], -v[10:11], v[12:13], 1.0
	v_fmac_f64_e32 v[12:13], v[12:13], v[18:19]
	v_mul_f64 v[18:19], v[16:17], v[12:13]
	v_fma_f64 v[10:11], -v[10:11], v[18:19], v[16:17]
	v_div_fmas_f64 v[10:11], v[10:11], v[12:13], v[18:19]
	v_div_fixup_f64 v[10:11], v[10:11], v[14:15], -s[24:25]
	global_store_dwordx2 v[8:9], v[10:11], off offset:8
	global_load_dwordx4 v[10:13], v[6:7], off offset:-8
	s_nop 0
	global_load_dwordx2 v[16:17], v[6:7], off offset:8
	global_load_dwordx2 v[18:19], v[4:5], off
	s_waitcnt vmcnt(2)
	v_mul_f64 v[10:11], s[40:41], v[10:11]
	v_fma_f64 v[10:11], v[2:3], v[12:13], -v[10:11]
	s_waitcnt vmcnt(1)
	v_fma_f64 v[10:11], -s[36:37], v[16:17], v[10:11]
	s_waitcnt vmcnt(0)
	v_fma_f64 v[10:11], -s[26:27], v[18:19], v[10:11]
	v_div_scale_f64 v[12:13], s[14:15], v[14:15], v[14:15], v[10:11]
	v_rcp_f64_e32 v[16:17], v[12:13]
	v_div_scale_f64 v[18:19], vcc, v[10:11], v[14:15], v[10:11]
	v_fma_f64 v[20:21], -v[12:13], v[16:17], 1.0
	v_fmac_f64_e32 v[16:17], v[16:17], v[20:21]
	v_fma_f64 v[20:21], -v[12:13], v[16:17], 1.0
	v_fmac_f64_e32 v[16:17], v[16:17], v[20:21]
	v_mul_f64 v[20:21], v[18:19], v[16:17]
	v_fma_f64 v[12:13], -v[12:13], v[20:21], v[18:19]
	v_div_fmas_f64 v[12:13], v[12:13], v[16:17], v[20:21]
	v_div_fixup_f64 v[10:11], v[12:13], v[14:15], v[10:11]
	global_store_dwordx2 v[4:5], v[10:11], off offset:8
	s_branch .LBB4_4
.LBB4_7:
	s_load_dwordx4 s[12:15], s[4:5], 0x278
	s_and_saveexec_b64 s[2:3], s[0:1]
	s_cbranch_execz .LBB4_9
; %bb.8:
	s_load_dwordx2 s[6:7], s[4:5], 0x248
	s_waitcnt lgkmcnt(0)
	s_add_u32 s10, s12, -1
	s_addc_u32 s11, s13, -1
	v_lshlrev_b64 v[2:3], 3, v[0:1]
	v_mov_b32_e32 v5, 0x3ff00000
	s_mul_i32 s7, s10, s7
	s_mul_hi_u32 s12, s10, s6
	s_mul_i32 s11, s11, s6
	s_add_i32 s7, s12, s7
	s_add_i32 s7, s7, s11
	s_mul_i32 s6, s10, s6
	s_lshl_b64 s[6:7], s[6:7], 3
	s_add_u32 s10, s38, s6
	s_addc_u32 s11, s39, s7
	s_lshl_b64 s[6:7], s[8:9], 3
	s_add_u32 s6, s6, s10
	s_addc_u32 s7, s7, s11
	v_mov_b32_e32 v4, s7
	v_add_co_u32_e32 v2, vcc, s6, v2
	v_addc_co_u32_e32 v3, vcc, v4, v3, vcc
	v_mov_b32_e32 v4, 0
	global_store_dwordx2 v[2:3], v[4:5], off
.LBB4_9:
	s_or_b64 exec, exec, s[2:3]
	s_sub_u32 s6, s20, s16
	s_subb_u32 s7, s21, s17
	s_or_b64 s[2:3], s[6:7], s[22:23]
	s_mov_b32 s2, 0
	s_cmp_lg_u64 s[2:3], 0
	s_cbranch_scc0 .LBB4_18
; %bb.10:
	s_ashr_i32 s10, s23, 31
	s_add_u32 s2, s22, s10
	s_mov_b32 s11, s10
	s_addc_u32 s3, s23, s10
	s_xor_b64 s[20:21], s[2:3], s[10:11]
	v_cvt_f32_u32_e32 v2, s20
	v_cvt_f32_u32_e32 v3, s21
	s_sub_u32 s2, 0, s20
	s_subb_u32 s3, 0, s21
	s_waitcnt lgkmcnt(0)
	v_madmk_f32 v2, v3, 0x4f800000, v2
	v_rcp_f32_e32 v2, v2
	v_mul_f32_e32 v2, 0x5f7ffffc, v2
	v_mul_f32_e32 v3, 0x2f800000, v2
	v_trunc_f32_e32 v3, v3
	v_madmk_f32 v2, v3, 0xcf800000, v2
	v_cvt_u32_f32_e32 v3, v3
	v_cvt_u32_f32_e32 v2, v2
	v_readfirstlane_b32 s24, v3
	v_readfirstlane_b32 s25, v2
	s_mul_i32 s26, s2, s24
	s_mul_hi_u32 s28, s2, s25
	s_mul_i32 s27, s3, s25
	s_add_i32 s26, s28, s26
	s_add_i32 s26, s26, s27
	s_mul_i32 s29, s2, s25
	s_mul_hi_u32 s27, s25, s26
	s_mul_i32 s28, s25, s26
	s_mul_hi_u32 s25, s25, s29
	s_add_u32 s25, s25, s28
	s_addc_u32 s27, 0, s27
	s_mul_hi_u32 s30, s24, s29
	s_mul_i32 s29, s24, s29
	s_add_u32 s25, s25, s29
	s_mul_hi_u32 s28, s24, s26
	s_addc_u32 s25, s27, s30
	s_addc_u32 s27, s28, 0
	s_mul_i32 s26, s24, s26
	s_add_u32 s25, s25, s26
	s_addc_u32 s26, 0, s27
	v_add_co_u32_e32 v2, vcc, s25, v2
	s_cmp_lg_u64 vcc, 0
	s_addc_u32 s24, s24, s26
	v_readfirstlane_b32 s26, v2
	s_mul_i32 s25, s2, s24
	s_mul_hi_u32 s27, s2, s26
	s_add_i32 s25, s27, s25
	s_mul_i32 s3, s3, s26
	s_add_i32 s25, s25, s3
	s_mul_i32 s2, s2, s26
	s_mul_hi_u32 s27, s24, s2
	s_mul_i32 s28, s24, s2
	s_mul_i32 s30, s26, s25
	s_mul_hi_u32 s2, s26, s2
	s_mul_hi_u32 s29, s26, s25
	s_add_u32 s2, s2, s30
	s_addc_u32 s26, 0, s29
	s_add_u32 s2, s2, s28
	s_mul_hi_u32 s3, s24, s25
	s_addc_u32 s2, s26, s27
	s_addc_u32 s3, s3, 0
	s_mul_i32 s25, s24, s25
	s_add_u32 s2, s2, s25
	s_addc_u32 s3, 0, s3
	v_add_co_u32_e32 v2, vcc, s2, v2
	s_cmp_lg_u64 vcc, 0
	s_addc_u32 s28, s24, s3
	s_ashr_i32 s24, s7, 31
	s_add_u32 s2, s6, s24
	s_mov_b32 s25, s24
	s_addc_u32 s3, s7, s24
	s_xor_b64 s[26:27], s[2:3], s[24:25]
	v_readfirstlane_b32 s29, v2
	s_mul_i32 s3, s26, s28
	s_mul_hi_u32 s30, s26, s29
	s_mul_hi_u32 s2, s26, s28
	s_add_u32 s3, s30, s3
	s_addc_u32 s2, 0, s2
	s_mul_hi_u32 s31, s27, s29
	s_mul_i32 s29, s27, s29
	s_add_u32 s3, s3, s29
	s_mul_hi_u32 s30, s27, s28
	s_addc_u32 s2, s2, s31
	s_addc_u32 s3, s30, 0
	s_mul_i32 s28, s27, s28
	s_add_u32 s28, s2, s28
	s_addc_u32 s29, 0, s3
	s_mul_i32 s2, s20, s29
	s_mul_hi_u32 s3, s20, s28
	s_add_i32 s2, s3, s2
	s_mul_i32 s3, s21, s28
	s_add_i32 s30, s2, s3
	s_mul_i32 s3, s20, s28
	v_mov_b32_e32 v2, s3
	s_sub_i32 s2, s27, s30
	v_sub_co_u32_e32 v2, vcc, s26, v2
	s_cmp_lg_u64 vcc, 0
	s_subb_u32 s26, s2, s21
	v_subrev_co_u32_e64 v3, s[2:3], s20, v2
	s_cmp_lg_u64 s[2:3], 0
	s_subb_u32 s2, s26, 0
	s_cmp_ge_u32 s2, s21
	v_readfirstlane_b32 s26, v3
	s_cselect_b32 s3, -1, 0
	s_cmp_ge_u32 s26, s20
	s_cselect_b32 s26, -1, 0
	s_cmp_eq_u32 s2, s21
	s_cselect_b32 s2, s26, s3
	s_add_u32 s3, s28, 1
	s_addc_u32 s26, s29, 0
	s_add_u32 s31, s28, 2
	s_addc_u32 s33, s29, 0
	s_cmp_lg_u32 s2, 0
	s_cselect_b32 s2, s31, s3
	s_cselect_b32 s3, s33, s26
	s_cmp_lg_u64 vcc, 0
	s_subb_u32 s26, s27, s30
	s_cmp_ge_u32 s26, s21
	v_readfirstlane_b32 s30, v2
	s_cselect_b32 s27, -1, 0
	s_cmp_ge_u32 s30, s20
	s_cselect_b32 s20, -1, 0
	s_cmp_eq_u32 s26, s21
	s_cselect_b32 s20, s20, s27
	s_cmp_lg_u32 s20, 0
	s_cselect_b32 s3, s3, s29
	s_cselect_b32 s2, s2, s28
	s_xor_b64 s[10:11], s[24:25], s[10:11]
	s_xor_b64 s[2:3], s[2:3], s[10:11]
	s_sub_u32 s2, s2, s10
	s_subb_u32 s3, s3, s11
	s_cbranch_execnz .LBB4_12
.LBB4_11:
	v_cvt_f32_u32_e32 v2, s22
	s_sub_i32 s2, 0, s22
	s_mov_b32 s3, 0
	v_rcp_iflag_f32_e32 v2, v2
	v_mul_f32_e32 v2, 0x4f7ffffe, v2
	v_cvt_u32_f32_e32 v2, v2
	v_readfirstlane_b32 s10, v2
	s_mul_i32 s2, s2, s10
	s_mul_hi_u32 s2, s10, s2
	s_add_i32 s10, s10, s2
	s_mul_hi_u32 s2, s6, s10
	s_mul_i32 s11, s2, s22
	s_sub_i32 s11, s6, s11
	s_add_i32 s10, s2, 1
	s_sub_i32 s12, s11, s22
	s_cmp_ge_u32 s11, s22
	s_cselect_b32 s2, s10, s2
	s_cselect_b32 s11, s12, s11
	s_add_i32 s10, s2, 1
	s_cmp_ge_u32 s11, s22
	s_cselect_b32 s2, s10, s2
.LBB4_12:
	s_mul_i32 s10, s2, s23
	s_mul_hi_u32 s11, s2, s22
	s_add_i32 s10, s11, s10
	s_mul_i32 s11, s3, s22
	s_add_i32 s10, s10, s11
	s_mul_i32 s11, s2, s22
	s_sub_u32 s6, s6, s11
	s_subb_u32 s7, s7, s10
	s_cmp_lg_u64 s[6:7], 0
	s_cselect_b64 s[6:7], -1, 0
	v_cndmask_b32_e64 v2, 0, 1, s[6:7]
	v_mov_b32_e32 v3, s3
	v_add_co_u32_e32 v2, vcc, s2, v2
	v_addc_co_u32_e32 v3, vcc, 0, v3, vcc
	v_cmp_gt_i64_e32 vcc, 1, v[2:3]
	s_cbranch_vccnz .LBB4_17
; %bb.13:
	s_load_dwordx2 s[2:3], s[4:5], 0x298
	s_load_dwordx2 s[6:7], s[4:5], 0x2c8
	;; [unrolled: 1-line block ×5, first 2 shown]
	v_mov_b32_e32 v4, s9
	v_add_co_u32_e32 v6, vcc, s8, v0
	v_addc_co_u32_e32 v7, vcc, v4, v1, vcc
	s_waitcnt lgkmcnt(0)
	v_mul_lo_u32 v4, s11, v6
	v_mul_lo_u32 v5, s10, v7
	v_mad_u64_u32 v[0:1], s[4:5], s10, v6, 0
	v_add3_u32 v1, v1, v5, v4
	v_lshlrev_b64 v[0:1], 3, v[0:1]
	v_mov_b32_e32 v5, s7
	v_add_co_u32_e32 v4, vcc, s6, v0
	v_addc_co_u32_e32 v5, vcc, v5, v1, vcc
	v_lshlrev_b64 v[0:1], 3, v[6:7]
	v_mov_b32_e32 v8, s15
	v_add_co_u32_e32 v0, vcc, s14, v0
	s_mul_i32 s8, s16, s3
	s_mul_hi_u32 s9, s16, s2
	s_mul_i32 s10, s18, s3
	s_mul_hi_u32 s11, s18, s2
	v_addc_co_u32_e32 v1, vcc, v8, v1, vcc
	v_mul_lo_u32 v8, s21, v6
	v_mul_lo_u32 v9, s20, v7
	v_mad_u64_u32 v[6:7], s[4:5], s20, v6, 0
	s_add_i32 s8, s9, s8
	s_mul_i32 s9, s17, s2
	s_add_i32 s10, s11, s10
	s_mul_i32 s11, s19, s2
	v_add3_u32 v7, v7, v9, v8
	s_add_i32 s9, s8, s9
	s_mul_i32 s8, s16, s2
	s_add_i32 s11, s10, s11
	s_mul_i32 s10, s18, s2
	v_lshlrev_b64 v[6:7], 3, v[6:7]
	s_lshl_b64 s[4:5], s[16:17], 3
	s_lshl_b64 s[6:7], s[18:19], 3
	;; [unrolled: 1-line block ×4, first 2 shown]
	v_add_co_u32_e32 v6, vcc, s12, v6
	s_add_u32 s12, s16, 1
	v_mov_b32_e32 v8, s13
	s_addc_u32 s13, s17, 0
	s_mul_i32 s13, s2, s13
	s_mul_hi_u32 s14, s2, s12
	s_add_i32 s13, s14, s13
	s_mul_i32 s3, s3, s12
	s_add_i32 s3, s13, s3
	s_mul_i32 s2, s2, s12
	v_addc_co_u32_e32 v7, vcc, v8, v7, vcc
	s_lshl_b64 s[12:13], s[2:3], 3
	v_mov_b32_e32 v8, s11
	s_branch .LBB4_15
.LBB4_14:                               ;   in Loop: Header=BB4_15 Depth=1
	s_or_b64 exec, exec, s[2:3]
	v_add_co_u32_e32 v2, vcc, -1, v2
	v_addc_co_u32_e32 v3, vcc, -1, v3, vcc
	s_add_u32 s4, s4, s6
	v_cmp_ne_u64_e32 vcc, 0, v[2:3]
	v_add_co_u32_e64 v0, s[2:3], s10, v0
	s_addc_u32 s5, s5, s7
	v_addc_co_u32_e64 v1, s[2:3], v1, v8, s[2:3]
	s_cbranch_vccz .LBB4_17
.LBB4_15:                               ; =>This Inner Loop Header: Depth=1
	s_and_saveexec_b64 s[2:3], s[0:1]
	s_cbranch_execz .LBB4_14
; %bb.16:                               ;   in Loop: Header=BB4_15 Depth=1
	v_mov_b32_e32 v9, s5
	v_add_co_u32_e32 v10, vcc, s4, v4
	v_addc_co_u32_e32 v11, vcc, v5, v9, vcc
	v_mov_b32_e32 v13, s13
	v_add_co_u32_e32 v12, vcc, s12, v0
	v_addc_co_u32_e32 v13, vcc, v1, v13, vcc
	v_add_co_u32_e32 v14, vcc, s4, v6
	v_addc_co_u32_e32 v15, vcc, v7, v9, vcc
	global_load_dwordx2 v[10:11], v[10:11], off
	v_mov_b32_e32 v9, s9
	global_load_dwordx2 v[12:13], v[12:13], off
	s_nop 0
	global_load_dwordx2 v[14:15], v[14:15], off
	s_waitcnt vmcnt(0)
	v_fmac_f64_e32 v[14:15], v[10:11], v[12:13]
	v_add_co_u32_e32 v10, vcc, s8, v0
	v_addc_co_u32_e32 v11, vcc, v1, v9, vcc
	global_store_dwordx2 v[10:11], v[14:15], off
	s_branch .LBB4_14
.LBB4_17:
	s_endpgm
.LBB4_18:
	s_waitcnt lgkmcnt(0)
                                        ; implicit-def: $sgpr2_sgpr3
	s_branch .LBB4_11
	.section	.rodata,"a",@progbits
	.p2align	6, 0x0
	.amdhsa_kernel _ZN4RAJA8internal22HipKernelLauncherFixedILi256ENS0_8LoopDataIN4camp5tupleIJNS_4SpanINS_9Iterators16numeric_iteratorIllPlEElEESA_NS5_INS6_24strided_numeric_iteratorIllS8_EElEEEEENS4_IJEEENS3_9resources2v13HipEJZN8rajaperf9polybench13POLYBENCH_ADI17runHipVariantImplILm256EEEvNSJ_9VariantIDEEUllE1_ZNSM_ILm256EEEvSN_EUlllE_ZNSM_ILm256EEEvSN_EUllE2_ZNSM_ILm256EEEvSN_EUlllE0_EEENS0_24HipStatementListExecutorISS_NS3_4listIJNS_9statement3ForILl0ENS_6policy3hip11hip_indexerINS_17iteration_mapping6DirectELNS_23kernel_sync_requirementE0EJNS_3hip11IndexGlobalILNS_9named_dimE0ELi256ELi0EEEEEEJNSV_6LambdaILl0EJNSU_IJNS0_9LambdaArgINS0_16lambda_arg_seg_tELl0EEEEEEEEENSW_ILl1ENSX_10sequential8seq_execEJNS18_ILl1EJNSU_IJS1B_NS19_IS1A_Ll1EEEEEEEEEEEENS18_ILl2EJS1C_EEENSW_ILl2ES1F_JNS18_ILl3EJNSU_IJS1B_NS19_IS1A_Ll2EEEEEEEEEEEEEEEEEENS0_9LoopTypesINSU_IJvvvEEES1S_EEEEEEvT0_
		.amdhsa_group_segment_fixed_size 0
		.amdhsa_private_segment_fixed_size 0
		.amdhsa_kernarg_size 896
		.amdhsa_user_sgpr_count 6
		.amdhsa_user_sgpr_private_segment_buffer 1
		.amdhsa_user_sgpr_dispatch_ptr 0
		.amdhsa_user_sgpr_queue_ptr 0
		.amdhsa_user_sgpr_kernarg_segment_ptr 1
		.amdhsa_user_sgpr_dispatch_id 0
		.amdhsa_user_sgpr_flat_scratch_init 0
		.amdhsa_user_sgpr_kernarg_preload_length 0
		.amdhsa_user_sgpr_kernarg_preload_offset 0
		.amdhsa_user_sgpr_private_segment_size 0
		.amdhsa_uses_dynamic_stack 0
		.amdhsa_system_sgpr_private_segment_wavefront_offset 0
		.amdhsa_system_sgpr_workgroup_id_x 1
		.amdhsa_system_sgpr_workgroup_id_y 0
		.amdhsa_system_sgpr_workgroup_id_z 0
		.amdhsa_system_sgpr_workgroup_info 0
		.amdhsa_system_vgpr_workitem_id 0
		.amdhsa_next_free_vgpr 22
		.amdhsa_next_free_sgpr 44
		.amdhsa_accum_offset 24
		.amdhsa_reserve_vcc 1
		.amdhsa_reserve_flat_scratch 0
		.amdhsa_float_round_mode_32 0
		.amdhsa_float_round_mode_16_64 0
		.amdhsa_float_denorm_mode_32 3
		.amdhsa_float_denorm_mode_16_64 3
		.amdhsa_dx10_clamp 1
		.amdhsa_ieee_mode 1
		.amdhsa_fp16_overflow 0
		.amdhsa_tg_split 0
		.amdhsa_exception_fp_ieee_invalid_op 0
		.amdhsa_exception_fp_denorm_src 0
		.amdhsa_exception_fp_ieee_div_zero 0
		.amdhsa_exception_fp_ieee_overflow 0
		.amdhsa_exception_fp_ieee_underflow 0
		.amdhsa_exception_fp_ieee_inexact 0
		.amdhsa_exception_int_div_zero 0
	.end_amdhsa_kernel
	.section	.text._ZN4RAJA8internal22HipKernelLauncherFixedILi256ENS0_8LoopDataIN4camp5tupleIJNS_4SpanINS_9Iterators16numeric_iteratorIllPlEElEESA_NS5_INS6_24strided_numeric_iteratorIllS8_EElEEEEENS4_IJEEENS3_9resources2v13HipEJZN8rajaperf9polybench13POLYBENCH_ADI17runHipVariantImplILm256EEEvNSJ_9VariantIDEEUllE1_ZNSM_ILm256EEEvSN_EUlllE_ZNSM_ILm256EEEvSN_EUllE2_ZNSM_ILm256EEEvSN_EUlllE0_EEENS0_24HipStatementListExecutorISS_NS3_4listIJNS_9statement3ForILl0ENS_6policy3hip11hip_indexerINS_17iteration_mapping6DirectELNS_23kernel_sync_requirementE0EJNS_3hip11IndexGlobalILNS_9named_dimE0ELi256ELi0EEEEEEJNSV_6LambdaILl0EJNSU_IJNS0_9LambdaArgINS0_16lambda_arg_seg_tELl0EEEEEEEEENSW_ILl1ENSX_10sequential8seq_execEJNS18_ILl1EJNSU_IJS1B_NS19_IS1A_Ll1EEEEEEEEEEEENS18_ILl2EJS1C_EEENSW_ILl2ES1F_JNS18_ILl3EJNSU_IJS1B_NS19_IS1A_Ll2EEEEEEEEEEEEEEEEEENS0_9LoopTypesINSU_IJvvvEEES1S_EEEEEEvT0_,"axG",@progbits,_ZN4RAJA8internal22HipKernelLauncherFixedILi256ENS0_8LoopDataIN4camp5tupleIJNS_4SpanINS_9Iterators16numeric_iteratorIllPlEElEESA_NS5_INS6_24strided_numeric_iteratorIllS8_EElEEEEENS4_IJEEENS3_9resources2v13HipEJZN8rajaperf9polybench13POLYBENCH_ADI17runHipVariantImplILm256EEEvNSJ_9VariantIDEEUllE1_ZNSM_ILm256EEEvSN_EUlllE_ZNSM_ILm256EEEvSN_EUllE2_ZNSM_ILm256EEEvSN_EUlllE0_EEENS0_24HipStatementListExecutorISS_NS3_4listIJNS_9statement3ForILl0ENS_6policy3hip11hip_indexerINS_17iteration_mapping6DirectELNS_23kernel_sync_requirementE0EJNS_3hip11IndexGlobalILNS_9named_dimE0ELi256ELi0EEEEEEJNSV_6LambdaILl0EJNSU_IJNS0_9LambdaArgINS0_16lambda_arg_seg_tELl0EEEEEEEEENSW_ILl1ENSX_10sequential8seq_execEJNS18_ILl1EJNSU_IJS1B_NS19_IS1A_Ll1EEEEEEEEEEEENS18_ILl2EJS1C_EEENSW_ILl2ES1F_JNS18_ILl3EJNSU_IJS1B_NS19_IS1A_Ll2EEEEEEEEEEEEEEEEEENS0_9LoopTypesINSU_IJvvvEEES1S_EEEEEEvT0_,comdat
.Lfunc_end4:
	.size	_ZN4RAJA8internal22HipKernelLauncherFixedILi256ENS0_8LoopDataIN4camp5tupleIJNS_4SpanINS_9Iterators16numeric_iteratorIllPlEElEESA_NS5_INS6_24strided_numeric_iteratorIllS8_EElEEEEENS4_IJEEENS3_9resources2v13HipEJZN8rajaperf9polybench13POLYBENCH_ADI17runHipVariantImplILm256EEEvNSJ_9VariantIDEEUllE1_ZNSM_ILm256EEEvSN_EUlllE_ZNSM_ILm256EEEvSN_EUllE2_ZNSM_ILm256EEEvSN_EUlllE0_EEENS0_24HipStatementListExecutorISS_NS3_4listIJNS_9statement3ForILl0ENS_6policy3hip11hip_indexerINS_17iteration_mapping6DirectELNS_23kernel_sync_requirementE0EJNS_3hip11IndexGlobalILNS_9named_dimE0ELi256ELi0EEEEEEJNSV_6LambdaILl0EJNSU_IJNS0_9LambdaArgINS0_16lambda_arg_seg_tELl0EEEEEEEEENSW_ILl1ENSX_10sequential8seq_execEJNS18_ILl1EJNSU_IJS1B_NS19_IS1A_Ll1EEEEEEEEEEEENS18_ILl2EJS1C_EEENSW_ILl2ES1F_JNS18_ILl3EJNSU_IJS1B_NS19_IS1A_Ll2EEEEEEEEEEEEEEEEEENS0_9LoopTypesINSU_IJvvvEEES1S_EEEEEEvT0_, .Lfunc_end4-_ZN4RAJA8internal22HipKernelLauncherFixedILi256ENS0_8LoopDataIN4camp5tupleIJNS_4SpanINS_9Iterators16numeric_iteratorIllPlEElEESA_NS5_INS6_24strided_numeric_iteratorIllS8_EElEEEEENS4_IJEEENS3_9resources2v13HipEJZN8rajaperf9polybench13POLYBENCH_ADI17runHipVariantImplILm256EEEvNSJ_9VariantIDEEUllE1_ZNSM_ILm256EEEvSN_EUlllE_ZNSM_ILm256EEEvSN_EUllE2_ZNSM_ILm256EEEvSN_EUlllE0_EEENS0_24HipStatementListExecutorISS_NS3_4listIJNS_9statement3ForILl0ENS_6policy3hip11hip_indexerINS_17iteration_mapping6DirectELNS_23kernel_sync_requirementE0EJNS_3hip11IndexGlobalILNS_9named_dimE0ELi256ELi0EEEEEEJNSV_6LambdaILl0EJNSU_IJNS0_9LambdaArgINS0_16lambda_arg_seg_tELl0EEEEEEEEENSW_ILl1ENSX_10sequential8seq_execEJNS18_ILl1EJNSU_IJS1B_NS19_IS1A_Ll1EEEEEEEEEEEENS18_ILl2EJS1C_EEENSW_ILl2ES1F_JNS18_ILl3EJNSU_IJS1B_NS19_IS1A_Ll2EEEEEEEEEEEEEEEEEENS0_9LoopTypesINSU_IJvvvEEES1S_EEEEEEvT0_
                                        ; -- End function
	.section	.AMDGPU.csdata,"",@progbits
; Kernel info:
; codeLenInByte = 2248
; NumSgprs: 48
; NumVgprs: 22
; NumAgprs: 0
; TotalNumVgprs: 22
; ScratchSize: 0
; MemoryBound: 1
; FloatMode: 240
; IeeeMode: 1
; LDSByteSize: 0 bytes/workgroup (compile time only)
; SGPRBlocks: 5
; VGPRBlocks: 2
; NumSGPRsForWavesPerEU: 48
; NumVGPRsForWavesPerEU: 22
; AccumOffset: 24
; Occupancy: 8
; WaveLimiterHint : 0
; COMPUTE_PGM_RSRC2:SCRATCH_EN: 0
; COMPUTE_PGM_RSRC2:USER_SGPR: 6
; COMPUTE_PGM_RSRC2:TRAP_HANDLER: 0
; COMPUTE_PGM_RSRC2:TGID_X_EN: 1
; COMPUTE_PGM_RSRC2:TGID_Y_EN: 0
; COMPUTE_PGM_RSRC2:TGID_Z_EN: 0
; COMPUTE_PGM_RSRC2:TIDIG_COMP_CNT: 0
; COMPUTE_PGM_RSRC3_GFX90A:ACCUM_OFFSET: 5
; COMPUTE_PGM_RSRC3_GFX90A:TG_SPLIT: 0
	.section	.text._ZN4RAJA8internal22HipKernelLauncherFixedILi256ENS0_8LoopDataIN4camp5tupleIJNS_4SpanINS_9Iterators16numeric_iteratorIllPlEElEESA_NS5_INS6_24strided_numeric_iteratorIllS8_EElEEEEENS4_IJEEENS3_9resources2v13HipEJZN8rajaperf9polybench13POLYBENCH_ADI17runHipVariantImplILm256EEEvNSJ_9VariantIDEEUllE3_ZNSM_ILm256EEEvSN_EUlllE1_ZNSM_ILm256EEEvSN_EUllE4_ZNSM_ILm256EEEvSN_EUlllE2_EEENS0_24HipStatementListExecutorISS_NS3_4listIJNS_9statement3ForILl0ENS_6policy3hip11hip_indexerINS_17iteration_mapping6DirectELNS_23kernel_sync_requirementE0EJNS_3hip11IndexGlobalILNS_9named_dimE0ELi256ELi0EEEEEEJNSV_6LambdaILl0EJNSU_IJNS0_9LambdaArgINS0_16lambda_arg_seg_tELl0EEEEEEEEENSW_ILl1ENSX_10sequential8seq_execEJNS18_ILl1EJNSU_IJS1B_NS19_IS1A_Ll1EEEEEEEEEEEENS18_ILl2EJS1C_EEENSW_ILl2ES1F_JNS18_ILl3EJNSU_IJS1B_NS19_IS1A_Ll2EEEEEEEEEEEEEEEEEENS0_9LoopTypesINSU_IJvvvEEES1S_EEEEEEvT0_,"axG",@progbits,_ZN4RAJA8internal22HipKernelLauncherFixedILi256ENS0_8LoopDataIN4camp5tupleIJNS_4SpanINS_9Iterators16numeric_iteratorIllPlEElEESA_NS5_INS6_24strided_numeric_iteratorIllS8_EElEEEEENS4_IJEEENS3_9resources2v13HipEJZN8rajaperf9polybench13POLYBENCH_ADI17runHipVariantImplILm256EEEvNSJ_9VariantIDEEUllE3_ZNSM_ILm256EEEvSN_EUlllE1_ZNSM_ILm256EEEvSN_EUllE4_ZNSM_ILm256EEEvSN_EUlllE2_EEENS0_24HipStatementListExecutorISS_NS3_4listIJNS_9statement3ForILl0ENS_6policy3hip11hip_indexerINS_17iteration_mapping6DirectELNS_23kernel_sync_requirementE0EJNS_3hip11IndexGlobalILNS_9named_dimE0ELi256ELi0EEEEEEJNSV_6LambdaILl0EJNSU_IJNS0_9LambdaArgINS0_16lambda_arg_seg_tELl0EEEEEEEEENSW_ILl1ENSX_10sequential8seq_execEJNS18_ILl1EJNSU_IJS1B_NS19_IS1A_Ll1EEEEEEEEEEEENS18_ILl2EJS1C_EEENSW_ILl2ES1F_JNS18_ILl3EJNSU_IJS1B_NS19_IS1A_Ll2EEEEEEEEEEEEEEEEEENS0_9LoopTypesINSU_IJvvvEEES1S_EEEEEEvT0_,comdat
	.protected	_ZN4RAJA8internal22HipKernelLauncherFixedILi256ENS0_8LoopDataIN4camp5tupleIJNS_4SpanINS_9Iterators16numeric_iteratorIllPlEElEESA_NS5_INS6_24strided_numeric_iteratorIllS8_EElEEEEENS4_IJEEENS3_9resources2v13HipEJZN8rajaperf9polybench13POLYBENCH_ADI17runHipVariantImplILm256EEEvNSJ_9VariantIDEEUllE3_ZNSM_ILm256EEEvSN_EUlllE1_ZNSM_ILm256EEEvSN_EUllE4_ZNSM_ILm256EEEvSN_EUlllE2_EEENS0_24HipStatementListExecutorISS_NS3_4listIJNS_9statement3ForILl0ENS_6policy3hip11hip_indexerINS_17iteration_mapping6DirectELNS_23kernel_sync_requirementE0EJNS_3hip11IndexGlobalILNS_9named_dimE0ELi256ELi0EEEEEEJNSV_6LambdaILl0EJNSU_IJNS0_9LambdaArgINS0_16lambda_arg_seg_tELl0EEEEEEEEENSW_ILl1ENSX_10sequential8seq_execEJNS18_ILl1EJNSU_IJS1B_NS19_IS1A_Ll1EEEEEEEEEEEENS18_ILl2EJS1C_EEENSW_ILl2ES1F_JNS18_ILl3EJNSU_IJS1B_NS19_IS1A_Ll2EEEEEEEEEEEEEEEEEENS0_9LoopTypesINSU_IJvvvEEES1S_EEEEEEvT0_ ; -- Begin function _ZN4RAJA8internal22HipKernelLauncherFixedILi256ENS0_8LoopDataIN4camp5tupleIJNS_4SpanINS_9Iterators16numeric_iteratorIllPlEElEESA_NS5_INS6_24strided_numeric_iteratorIllS8_EElEEEEENS4_IJEEENS3_9resources2v13HipEJZN8rajaperf9polybench13POLYBENCH_ADI17runHipVariantImplILm256EEEvNSJ_9VariantIDEEUllE3_ZNSM_ILm256EEEvSN_EUlllE1_ZNSM_ILm256EEEvSN_EUllE4_ZNSM_ILm256EEEvSN_EUlllE2_EEENS0_24HipStatementListExecutorISS_NS3_4listIJNS_9statement3ForILl0ENS_6policy3hip11hip_indexerINS_17iteration_mapping6DirectELNS_23kernel_sync_requirementE0EJNS_3hip11IndexGlobalILNS_9named_dimE0ELi256ELi0EEEEEEJNSV_6LambdaILl0EJNSU_IJNS0_9LambdaArgINS0_16lambda_arg_seg_tELl0EEEEEEEEENSW_ILl1ENSX_10sequential8seq_execEJNS18_ILl1EJNSU_IJS1B_NS19_IS1A_Ll1EEEEEEEEEEEENS18_ILl2EJS1C_EEENSW_ILl2ES1F_JNS18_ILl3EJNSU_IJS1B_NS19_IS1A_Ll2EEEEEEEEEEEEEEEEEENS0_9LoopTypesINSU_IJvvvEEES1S_EEEEEEvT0_
	.globl	_ZN4RAJA8internal22HipKernelLauncherFixedILi256ENS0_8LoopDataIN4camp5tupleIJNS_4SpanINS_9Iterators16numeric_iteratorIllPlEElEESA_NS5_INS6_24strided_numeric_iteratorIllS8_EElEEEEENS4_IJEEENS3_9resources2v13HipEJZN8rajaperf9polybench13POLYBENCH_ADI17runHipVariantImplILm256EEEvNSJ_9VariantIDEEUllE3_ZNSM_ILm256EEEvSN_EUlllE1_ZNSM_ILm256EEEvSN_EUllE4_ZNSM_ILm256EEEvSN_EUlllE2_EEENS0_24HipStatementListExecutorISS_NS3_4listIJNS_9statement3ForILl0ENS_6policy3hip11hip_indexerINS_17iteration_mapping6DirectELNS_23kernel_sync_requirementE0EJNS_3hip11IndexGlobalILNS_9named_dimE0ELi256ELi0EEEEEEJNSV_6LambdaILl0EJNSU_IJNS0_9LambdaArgINS0_16lambda_arg_seg_tELl0EEEEEEEEENSW_ILl1ENSX_10sequential8seq_execEJNS18_ILl1EJNSU_IJS1B_NS19_IS1A_Ll1EEEEEEEEEEEENS18_ILl2EJS1C_EEENSW_ILl2ES1F_JNS18_ILl3EJNSU_IJS1B_NS19_IS1A_Ll2EEEEEEEEEEEEEEEEEENS0_9LoopTypesINSU_IJvvvEEES1S_EEEEEEvT0_
	.p2align	8
	.type	_ZN4RAJA8internal22HipKernelLauncherFixedILi256ENS0_8LoopDataIN4camp5tupleIJNS_4SpanINS_9Iterators16numeric_iteratorIllPlEElEESA_NS5_INS6_24strided_numeric_iteratorIllS8_EElEEEEENS4_IJEEENS3_9resources2v13HipEJZN8rajaperf9polybench13POLYBENCH_ADI17runHipVariantImplILm256EEEvNSJ_9VariantIDEEUllE3_ZNSM_ILm256EEEvSN_EUlllE1_ZNSM_ILm256EEEvSN_EUllE4_ZNSM_ILm256EEEvSN_EUlllE2_EEENS0_24HipStatementListExecutorISS_NS3_4listIJNS_9statement3ForILl0ENS_6policy3hip11hip_indexerINS_17iteration_mapping6DirectELNS_23kernel_sync_requirementE0EJNS_3hip11IndexGlobalILNS_9named_dimE0ELi256ELi0EEEEEEJNSV_6LambdaILl0EJNSU_IJNS0_9LambdaArgINS0_16lambda_arg_seg_tELl0EEEEEEEEENSW_ILl1ENSX_10sequential8seq_execEJNS18_ILl1EJNSU_IJS1B_NS19_IS1A_Ll1EEEEEEEEEEEENS18_ILl2EJS1C_EEENSW_ILl2ES1F_JNS18_ILl3EJNSU_IJS1B_NS19_IS1A_Ll2EEEEEEEEEEEEEEEEEENS0_9LoopTypesINSU_IJvvvEEES1S_EEEEEEvT0_,@function
_ZN4RAJA8internal22HipKernelLauncherFixedILi256ENS0_8LoopDataIN4camp5tupleIJNS_4SpanINS_9Iterators16numeric_iteratorIllPlEElEESA_NS5_INS6_24strided_numeric_iteratorIllS8_EElEEEEENS4_IJEEENS3_9resources2v13HipEJZN8rajaperf9polybench13POLYBENCH_ADI17runHipVariantImplILm256EEEvNSJ_9VariantIDEEUllE3_ZNSM_ILm256EEEvSN_EUlllE1_ZNSM_ILm256EEEvSN_EUllE4_ZNSM_ILm256EEEvSN_EUlllE2_EEENS0_24HipStatementListExecutorISS_NS3_4listIJNS_9statement3ForILl0ENS_6policy3hip11hip_indexerINS_17iteration_mapping6DirectELNS_23kernel_sync_requirementE0EJNS_3hip11IndexGlobalILNS_9named_dimE0ELi256ELi0EEEEEEJNSV_6LambdaILl0EJNSU_IJNS0_9LambdaArgINS0_16lambda_arg_seg_tELl0EEEEEEEEENSW_ILl1ENSX_10sequential8seq_execEJNS18_ILl1EJNSU_IJS1B_NS19_IS1A_Ll1EEEEEEEEEEEENS18_ILl2EJS1C_EEENSW_ILl2ES1F_JNS18_ILl3EJNSU_IJS1B_NS19_IS1A_Ll2EEEEEEEEEEEEEEEEEENS0_9LoopTypesINSU_IJvvvEEES1S_EEEEEEvT0_: ; @_ZN4RAJA8internal22HipKernelLauncherFixedILi256ENS0_8LoopDataIN4camp5tupleIJNS_4SpanINS_9Iterators16numeric_iteratorIllPlEElEESA_NS5_INS6_24strided_numeric_iteratorIllS8_EElEEEEENS4_IJEEENS3_9resources2v13HipEJZN8rajaperf9polybench13POLYBENCH_ADI17runHipVariantImplILm256EEEvNSJ_9VariantIDEEUllE3_ZNSM_ILm256EEEvSN_EUlllE1_ZNSM_ILm256EEEvSN_EUllE4_ZNSM_ILm256EEEvSN_EUlllE2_EEENS0_24HipStatementListExecutorISS_NS3_4listIJNS_9statement3ForILl0ENS_6policy3hip11hip_indexerINS_17iteration_mapping6DirectELNS_23kernel_sync_requirementE0EJNS_3hip11IndexGlobalILNS_9named_dimE0ELi256ELi0EEEEEEJNSV_6LambdaILl0EJNSU_IJNS0_9LambdaArgINS0_16lambda_arg_seg_tELl0EEEEEEEEENSW_ILl1ENSX_10sequential8seq_execEJNS18_ILl1EJNSU_IJS1B_NS19_IS1A_Ll1EEEEEEEEEEEENS18_ILl2EJS1C_EEENSW_ILl2ES1F_JNS18_ILl3EJNSU_IJS1B_NS19_IS1A_Ll2EEEEEEEEEEEEEEEEEENS0_9LoopTypesINSU_IJvvvEEES1S_EEEEEEvT0_
; %bb.0:
	s_load_dwordx16 s[8:23], s[4:5], 0x0
	s_mov_b32 s7, 0
	s_waitcnt lgkmcnt(0)
	s_sub_u32 s0, s10, s8
	s_subb_u32 s1, s11, s9
	s_lshl_b64 s[2:3], s[6:7], 8
	v_or_b32_e32 v0, s2, v0
	v_mov_b32_e32 v1, s3
	v_cmp_gt_i64_e64 s[0:1], s[0:1], v[0:1]
	s_and_saveexec_b64 s[2:3], s[0:1]
	s_cbranch_execz .LBB5_2
; %bb.1:
	s_load_dwordx2 s[6:7], s[4:5], 0x58
	s_load_dwordx2 s[10:11], s[4:5], 0xb8
	;; [unrolled: 1-line block ×4, first 2 shown]
	v_mov_b32_e32 v2, s9
	v_add_co_u32_e32 v8, vcc, s8, v0
	v_addc_co_u32_e32 v9, vcc, v2, v1, vcc
	s_waitcnt lgkmcnt(0)
	v_mul_lo_u32 v4, s27, v8
	v_mul_lo_u32 v5, s26, v9
	v_mad_u64_u32 v[2:3], s[26:27], s26, v8, 0
	v_add3_u32 v3, v3, v5, v4
	v_lshlrev_b64 v[2:3], 3, v[2:3]
	v_mov_b32_e32 v4, s7
	v_add_co_u32_e32 v2, vcc, s6, v2
	v_addc_co_u32_e32 v3, vcc, v4, v3, vcc
	v_mov_b32_e32 v4, 0
	v_mov_b32_e32 v5, 0x3ff00000
	global_store_dwordx2 v[2:3], v[4:5], off
	v_mul_lo_u32 v5, s11, v8
	v_mul_lo_u32 v10, s10, v9
	v_mad_u64_u32 v[6:7], s[6:7], s10, v8, 0
	v_add3_u32 v7, v7, v10, v5
	v_lshlrev_b64 v[6:7], 3, v[6:7]
	v_mov_b32_e32 v5, s25
	v_add_co_u32_e32 v6, vcc, s24, v6
	v_addc_co_u32_e32 v7, vcc, v5, v7, vcc
	v_mov_b32_e32 v5, v4
	global_store_dwordx2 v[6:7], v[4:5], off
	global_load_dwordx2 v[2:3], v[2:3], off
	s_load_dwordx2 s[6:7], s[4:5], 0x100
	s_load_dwordx2 s[10:11], s[4:5], 0xe8
	s_waitcnt lgkmcnt(0)
	v_mul_lo_u32 v6, s7, v8
	v_mul_lo_u32 v7, s6, v9
	v_mad_u64_u32 v[4:5], s[6:7], s6, v8, 0
	v_add3_u32 v5, v5, v7, v6
	v_lshlrev_b64 v[4:5], 3, v[4:5]
	v_mov_b32_e32 v6, s11
	v_add_co_u32_e32 v4, vcc, s10, v4
	v_addc_co_u32_e32 v5, vcc, v6, v5, vcc
	s_waitcnt vmcnt(0)
	global_store_dwordx2 v[4:5], v[2:3], off
.LBB5_2:
	s_or_b64 exec, exec, s[2:3]
	s_load_dwordx4 s[36:39], s[4:5], 0x228
	s_sub_u32 s2, s14, s12
	s_subb_u32 s3, s15, s13
	v_cmp_lt_i64_e64 s[6:7], s[2:3], 1
	s_and_b64 vcc, exec, s[6:7]
	s_cbranch_vccnz .LBB5_7
; %bb.3:
	s_load_dwordx2 s[10:11], s[4:5], 0x130
	s_load_dwordx2 s[14:15], s[4:5], 0x148
	;; [unrolled: 1-line block ×3, first 2 shown]
	s_load_dwordx8 s[24:31], s[4:5], 0x178
	s_load_dwordx2 s[34:35], s[4:5], 0x1a8
	s_load_dwordx4 s[40:43], s[4:5], 0x1d8
	v_mov_b32_e32 v2, s9
	v_add_co_u32_e32 v12, vcc, s8, v0
	v_addc_co_u32_e32 v13, vcc, v2, v1, vcc
	s_waitcnt lgkmcnt(0)
	v_mul_lo_u32 v6, s35, v12
	v_mul_lo_u32 v7, s34, v13
	v_mad_u64_u32 v[4:5], s[34:35], s34, v12, 0
	s_lshl_b64 s[12:13], s[12:13], 3
	v_add_co_u32_e32 v10, vcc, -1, v12
	v_add3_u32 v5, v5, v7, v6
	s_add_u32 s30, s30, s12
	v_addc_co_u32_e32 v11, vcc, -1, v13, vcc
	v_lshlrev_b64 v[4:5], 3, v[4:5]
	s_addc_u32 s31, s31, s13
	v_mov_b32_e32 v6, s31
	v_add_co_u32_e32 v4, vcc, s30, v4
	v_addc_co_u32_e32 v5, vcc, v6, v5, vcc
	v_add_co_u32_e32 v4, vcc, -8, v4
	v_addc_co_u32_e32 v5, vcc, -1, v5, vcc
	v_lshlrev_b64 v[6:7], 3, v[12:13]
	s_add_u32 s30, s42, s12
	v_add_co_u32_e32 v8, vcc, 8, v6
	s_addc_u32 s31, s43, s13
	v_addc_co_u32_e32 v9, vcc, 0, v7, vcc
	v_pk_mov_b32 v[6:7], s[30:31], s[30:31] op_sel:[0,1]
	v_mad_u64_u32 v[6:7], s[34:35], s6, v8, v[6:7]
	v_mul_lo_u32 v9, s6, v9
	v_mul_lo_u32 v8, s7, v8
	v_add3_u32 v7, v8, v7, v9
	v_mul_lo_u32 v14, s15, v12
	v_mul_lo_u32 v15, s14, v13
	v_mad_u64_u32 v[8:9], s[14:15], s14, v12, 0
	v_add3_u32 v9, v9, v15, v14
	s_add_u32 s10, s10, s12
	v_lshlrev_b64 v[8:9], 3, v[8:9]
	s_addc_u32 s11, s11, s13
	v_mov_b32_e32 v14, s11
	v_add_co_u32_e32 v8, vcc, s10, v8
	v_addc_co_u32_e32 v9, vcc, v14, v9, vcc
	v_mul_lo_u32 v14, s7, v10
	v_mul_lo_u32 v15, s6, v11
	v_mad_u64_u32 v[10:11], s[10:11], s6, v10, 0
	v_add_co_u32_e32 v8, vcc, -8, v8
	v_add3_u32 v11, v11, v15, v14
	v_addc_co_u32_e32 v9, vcc, -1, v9, vcc
	v_lshlrev_b64 v[10:11], 3, v[10:11]
	v_mov_b32_e32 v14, s31
	v_add_co_u32_e32 v10, vcc, s30, v10
	v_addc_co_u32_e32 v11, vcc, v14, v11, vcc
	v_mul_lo_u32 v14, s7, v12
	v_mul_lo_u32 v15, s6, v13
	v_mad_u64_u32 v[12:13], s[6:7], s6, v12, 0
	v_add3_u32 v13, v13, v15, v14
	v_lshlrev_b64 v[12:13], 3, v[12:13]
	v_mov_b32_e32 v14, s31
	v_add_co_u32_e32 v12, vcc, s30, v12
	v_fma_f64 v[2:3], s[40:41], 2.0, 1.0
	v_addc_co_u32_e32 v13, vcc, v14, v13, vcc
	s_mov_b64 s[6:7], 0
	s_branch .LBB5_5
.LBB5_4:                                ;   in Loop: Header=BB5_5 Depth=1
	s_or_b64 exec, exec, s[10:11]
	v_add_co_u32_e32 v4, vcc, 8, v4
	v_addc_co_u32_e32 v5, vcc, 0, v5, vcc
	v_add_co_u32_e32 v6, vcc, 8, v6
	v_addc_co_u32_e32 v7, vcc, 0, v7, vcc
	;; [unrolled: 2-line block ×4, first 2 shown]
	s_add_u32 s6, s6, 1
	v_add_co_u32_e32 v12, vcc, 8, v12
	s_addc_u32 s7, s7, 0
	v_addc_co_u32_e32 v13, vcc, 0, v13, vcc
	v_pk_mov_b32 v[14:15], s[2:3], s[2:3] op_sel:[0,1]
	v_cmp_lt_i64_e32 vcc, s[6:7], v[14:15]
	s_cbranch_vccz .LBB5_7
.LBB5_5:                                ; =>This Inner Loop Header: Depth=1
	s_and_saveexec_b64 s[10:11], s[0:1]
	s_cbranch_execz .LBB5_4
; %bb.6:                                ;   in Loop: Header=BB5_5 Depth=1
	global_load_dwordx2 v[14:15], v[8:9], off
	v_pk_mov_b32 v[16:17], s[28:29], s[28:29] op_sel:[0,1]
	s_waitcnt vmcnt(0)
	v_fma_f64 v[14:15], s[26:27], v[14:15], v[16:17]
	v_div_scale_f64 v[16:17], s[12:13], v[14:15], v[14:15], -s[24:25]
	v_rcp_f64_e32 v[18:19], v[16:17]
	v_div_scale_f64 v[20:21], vcc, -s[24:25], v[14:15], -s[24:25]
	v_fma_f64 v[22:23], -v[16:17], v[18:19], 1.0
	v_fmac_f64_e32 v[18:19], v[18:19], v[22:23]
	v_fma_f64 v[22:23], -v[16:17], v[18:19], 1.0
	v_fmac_f64_e32 v[18:19], v[18:19], v[22:23]
	v_mul_f64 v[22:23], v[20:21], v[18:19]
	v_fma_f64 v[16:17], -v[16:17], v[22:23], v[20:21]
	v_div_fmas_f64 v[16:17], v[16:17], v[18:19], v[22:23]
	v_div_fixup_f64 v[16:17], v[16:17], v[14:15], -s[24:25]
	global_store_dwordx2 v[8:9], v[16:17], off offset:8
	global_load_dwordx2 v[16:17], v[10:11], off
	s_nop 0
	global_load_dwordx2 v[18:19], v[12:13], off
	global_load_dwordx2 v[20:21], v[6:7], off
	;; [unrolled: 1-line block ×3, first 2 shown]
	s_waitcnt vmcnt(3)
	v_mul_f64 v[16:17], s[40:41], v[16:17]
	s_waitcnt vmcnt(2)
	v_fma_f64 v[16:17], v[2:3], v[18:19], -v[16:17]
	s_waitcnt vmcnt(1)
	v_fma_f64 v[16:17], -s[36:37], v[20:21], v[16:17]
	s_waitcnt vmcnt(0)
	v_fma_f64 v[16:17], -s[26:27], v[22:23], v[16:17]
	v_div_scale_f64 v[18:19], s[12:13], v[14:15], v[14:15], v[16:17]
	v_rcp_f64_e32 v[20:21], v[18:19]
	v_div_scale_f64 v[22:23], vcc, v[16:17], v[14:15], v[16:17]
	v_fma_f64 v[24:25], -v[18:19], v[20:21], 1.0
	v_fmac_f64_e32 v[20:21], v[20:21], v[24:25]
	v_fma_f64 v[24:25], -v[18:19], v[20:21], 1.0
	v_fmac_f64_e32 v[20:21], v[20:21], v[24:25]
	v_mul_f64 v[24:25], v[22:23], v[20:21]
	v_fma_f64 v[18:19], -v[18:19], v[24:25], v[22:23]
	v_div_fmas_f64 v[18:19], v[18:19], v[20:21], v[24:25]
	v_div_fixup_f64 v[14:15], v[18:19], v[14:15], v[16:17]
	global_store_dwordx2 v[4:5], v[14:15], off offset:8
	s_branch .LBB5_4
.LBB5_7:
	s_load_dwordx4 s[12:15], s[4:5], 0x278
	s_and_saveexec_b64 s[2:3], s[0:1]
	s_cbranch_execz .LBB5_9
; %bb.8:
	s_load_dwordx2 s[6:7], s[4:5], 0x248
	v_mov_b32_e32 v2, s9
	v_add_co_u32_e32 v3, vcc, s8, v0
	v_addc_co_u32_e32 v2, vcc, v2, v1, vcc
	s_waitcnt lgkmcnt(0)
	v_mul_lo_u32 v4, s7, v3
	v_mul_lo_u32 v5, s6, v2
	v_mad_u64_u32 v[2:3], s[6:7], s6, v3, 0
	s_lshl_b64 s[6:7], s[12:13], 3
	v_add3_u32 v3, v3, v5, v4
	s_add_u32 s6, s6, s38
	v_lshlrev_b64 v[2:3], 3, v[2:3]
	s_addc_u32 s7, s7, s39
	v_mov_b32_e32 v4, s7
	v_add_co_u32_e32 v2, vcc, s6, v2
	v_addc_co_u32_e32 v3, vcc, v4, v3, vcc
	v_mov_b32_e32 v4, 0
	v_mov_b32_e32 v5, 0x3ff00000
	global_store_dwordx2 v[2:3], v[4:5], off offset:-8
.LBB5_9:
	s_or_b64 exec, exec, s[2:3]
	s_sub_u32 s6, s20, s16
	s_subb_u32 s7, s21, s17
	s_or_b64 s[2:3], s[6:7], s[22:23]
	s_mov_b32 s2, 0
	s_cmp_lg_u64 s[2:3], 0
	s_cbranch_scc0 .LBB5_18
; %bb.10:
	s_ashr_i32 s10, s23, 31
	s_add_u32 s2, s22, s10
	s_mov_b32 s11, s10
	s_addc_u32 s3, s23, s10
	s_xor_b64 s[20:21], s[2:3], s[10:11]
	v_cvt_f32_u32_e32 v2, s20
	v_cvt_f32_u32_e32 v3, s21
	s_sub_u32 s2, 0, s20
	s_subb_u32 s3, 0, s21
	s_waitcnt lgkmcnt(0)
	v_madmk_f32 v2, v3, 0x4f800000, v2
	v_rcp_f32_e32 v2, v2
	v_mul_f32_e32 v2, 0x5f7ffffc, v2
	v_mul_f32_e32 v3, 0x2f800000, v2
	v_trunc_f32_e32 v3, v3
	v_madmk_f32 v2, v3, 0xcf800000, v2
	v_cvt_u32_f32_e32 v3, v3
	v_cvt_u32_f32_e32 v2, v2
	v_readfirstlane_b32 s24, v3
	v_readfirstlane_b32 s25, v2
	s_mul_i32 s26, s2, s24
	s_mul_hi_u32 s28, s2, s25
	s_mul_i32 s27, s3, s25
	s_add_i32 s26, s28, s26
	s_add_i32 s26, s26, s27
	s_mul_i32 s29, s2, s25
	s_mul_hi_u32 s27, s25, s26
	s_mul_i32 s28, s25, s26
	s_mul_hi_u32 s25, s25, s29
	s_add_u32 s25, s25, s28
	s_addc_u32 s27, 0, s27
	s_mul_hi_u32 s30, s24, s29
	s_mul_i32 s29, s24, s29
	s_add_u32 s25, s25, s29
	s_mul_hi_u32 s28, s24, s26
	s_addc_u32 s25, s27, s30
	s_addc_u32 s27, s28, 0
	s_mul_i32 s26, s24, s26
	s_add_u32 s25, s25, s26
	s_addc_u32 s26, 0, s27
	v_add_co_u32_e32 v2, vcc, s25, v2
	s_cmp_lg_u64 vcc, 0
	s_addc_u32 s24, s24, s26
	v_readfirstlane_b32 s26, v2
	s_mul_i32 s25, s2, s24
	s_mul_hi_u32 s27, s2, s26
	s_add_i32 s25, s27, s25
	s_mul_i32 s3, s3, s26
	s_add_i32 s25, s25, s3
	s_mul_i32 s2, s2, s26
	s_mul_hi_u32 s27, s24, s2
	s_mul_i32 s28, s24, s2
	s_mul_i32 s30, s26, s25
	s_mul_hi_u32 s2, s26, s2
	s_mul_hi_u32 s29, s26, s25
	s_add_u32 s2, s2, s30
	s_addc_u32 s26, 0, s29
	s_add_u32 s2, s2, s28
	s_mul_hi_u32 s3, s24, s25
	s_addc_u32 s2, s26, s27
	s_addc_u32 s3, s3, 0
	s_mul_i32 s25, s24, s25
	s_add_u32 s2, s2, s25
	s_addc_u32 s3, 0, s3
	v_add_co_u32_e32 v2, vcc, s2, v2
	s_cmp_lg_u64 vcc, 0
	s_addc_u32 s28, s24, s3
	s_ashr_i32 s24, s7, 31
	s_add_u32 s2, s6, s24
	s_mov_b32 s25, s24
	s_addc_u32 s3, s7, s24
	s_xor_b64 s[26:27], s[2:3], s[24:25]
	v_readfirstlane_b32 s29, v2
	s_mul_i32 s3, s26, s28
	s_mul_hi_u32 s30, s26, s29
	s_mul_hi_u32 s2, s26, s28
	s_add_u32 s3, s30, s3
	s_addc_u32 s2, 0, s2
	s_mul_hi_u32 s31, s27, s29
	s_mul_i32 s29, s27, s29
	s_add_u32 s3, s3, s29
	s_mul_hi_u32 s30, s27, s28
	s_addc_u32 s2, s2, s31
	s_addc_u32 s3, s30, 0
	s_mul_i32 s28, s27, s28
	s_add_u32 s28, s2, s28
	s_addc_u32 s29, 0, s3
	s_mul_i32 s2, s20, s29
	s_mul_hi_u32 s3, s20, s28
	s_add_i32 s2, s3, s2
	s_mul_i32 s3, s21, s28
	s_add_i32 s30, s2, s3
	s_mul_i32 s3, s20, s28
	v_mov_b32_e32 v2, s3
	s_sub_i32 s2, s27, s30
	v_sub_co_u32_e32 v2, vcc, s26, v2
	s_cmp_lg_u64 vcc, 0
	s_subb_u32 s26, s2, s21
	v_subrev_co_u32_e64 v3, s[2:3], s20, v2
	s_cmp_lg_u64 s[2:3], 0
	s_subb_u32 s2, s26, 0
	s_cmp_ge_u32 s2, s21
	v_readfirstlane_b32 s26, v3
	s_cselect_b32 s3, -1, 0
	s_cmp_ge_u32 s26, s20
	s_cselect_b32 s26, -1, 0
	s_cmp_eq_u32 s2, s21
	s_cselect_b32 s2, s26, s3
	s_add_u32 s3, s28, 1
	s_addc_u32 s26, s29, 0
	s_add_u32 s31, s28, 2
	s_addc_u32 s33, s29, 0
	s_cmp_lg_u32 s2, 0
	s_cselect_b32 s2, s31, s3
	s_cselect_b32 s3, s33, s26
	s_cmp_lg_u64 vcc, 0
	s_subb_u32 s26, s27, s30
	s_cmp_ge_u32 s26, s21
	v_readfirstlane_b32 s30, v2
	s_cselect_b32 s27, -1, 0
	s_cmp_ge_u32 s30, s20
	s_cselect_b32 s20, -1, 0
	s_cmp_eq_u32 s26, s21
	s_cselect_b32 s20, s20, s27
	s_cmp_lg_u32 s20, 0
	s_cselect_b32 s3, s3, s29
	s_cselect_b32 s2, s2, s28
	s_xor_b64 s[10:11], s[24:25], s[10:11]
	s_xor_b64 s[2:3], s[2:3], s[10:11]
	s_sub_u32 s2, s2, s10
	s_subb_u32 s3, s3, s11
	s_cbranch_execnz .LBB5_12
.LBB5_11:
	v_cvt_f32_u32_e32 v2, s22
	s_sub_i32 s2, 0, s22
	s_mov_b32 s3, 0
	v_rcp_iflag_f32_e32 v2, v2
	v_mul_f32_e32 v2, 0x4f7ffffe, v2
	v_cvt_u32_f32_e32 v2, v2
	v_readfirstlane_b32 s10, v2
	s_mul_i32 s2, s2, s10
	s_mul_hi_u32 s2, s10, s2
	s_add_i32 s10, s10, s2
	s_mul_hi_u32 s2, s6, s10
	s_mul_i32 s11, s2, s22
	s_sub_i32 s11, s6, s11
	s_add_i32 s10, s2, 1
	s_sub_i32 s12, s11, s22
	s_cmp_ge_u32 s11, s22
	s_cselect_b32 s2, s10, s2
	s_cselect_b32 s11, s12, s11
	s_add_i32 s10, s2, 1
	s_cmp_ge_u32 s11, s22
	s_cselect_b32 s2, s10, s2
.LBB5_12:
	s_mul_i32 s10, s2, s23
	s_mul_hi_u32 s11, s2, s22
	s_add_i32 s10, s11, s10
	s_mul_i32 s11, s3, s22
	s_add_i32 s10, s10, s11
	s_mul_i32 s11, s2, s22
	s_sub_u32 s6, s6, s11
	s_subb_u32 s7, s7, s10
	s_cmp_lg_u64 s[6:7], 0
	s_cselect_b64 s[6:7], -1, 0
	v_cndmask_b32_e64 v2, 0, 1, s[6:7]
	v_mov_b32_e32 v3, s3
	v_add_co_u32_e32 v2, vcc, s2, v2
	v_addc_co_u32_e32 v3, vcc, 0, v3, vcc
	v_cmp_gt_i64_e32 vcc, 1, v[2:3]
	s_cbranch_vccnz .LBB5_17
; %bb.13:
	s_load_dwordx2 s[2:3], s[4:5], 0x298
	s_load_dwordx2 s[6:7], s[4:5], 0x2c8
	;; [unrolled: 1-line block ×5, first 2 shown]
	v_mov_b32_e32 v4, s9
	v_add_co_u32_e32 v6, vcc, s8, v0
	v_addc_co_u32_e32 v7, vcc, v4, v1, vcc
	s_waitcnt lgkmcnt(0)
	v_mul_lo_u32 v4, s11, v6
	v_mul_lo_u32 v5, s10, v7
	v_mad_u64_u32 v[0:1], s[4:5], s10, v6, 0
	v_add3_u32 v1, v1, v5, v4
	v_lshlrev_b64 v[0:1], 3, v[0:1]
	v_mov_b32_e32 v4, s7
	v_add_co_u32_e32 v0, vcc, s6, v0
	v_addc_co_u32_e32 v1, vcc, v4, v1, vcc
	v_mul_lo_u32 v8, s3, v6
	v_mul_lo_u32 v9, s2, v7
	v_mad_u64_u32 v[4:5], s[2:3], s2, v6, 0
	v_add3_u32 v5, v5, v9, v8
	v_lshlrev_b64 v[4:5], 3, v[4:5]
	v_mov_b32_e32 v8, s15
	v_add_co_u32_e32 v4, vcc, s14, v4
	v_addc_co_u32_e32 v5, vcc, v8, v5, vcc
	;; [unrolled: 8-line block ×3, first 2 shown]
	s_lshl_b64 s[2:3], s[16:17], 3
	s_lshl_b64 s[4:5], s[18:19], 3
	s_branch .LBB5_15
.LBB5_14:                               ;   in Loop: Header=BB5_15 Depth=1
	s_or_b64 exec, exec, s[6:7]
	v_add_co_u32_e32 v2, vcc, -1, v2
	v_addc_co_u32_e32 v3, vcc, -1, v3, vcc
	s_add_u32 s2, s2, s4
	v_cmp_ne_u64_e32 vcc, 0, v[2:3]
	s_addc_u32 s3, s3, s5
	s_cbranch_vccz .LBB5_17
.LBB5_15:                               ; =>This Inner Loop Header: Depth=1
	s_and_saveexec_b64 s[6:7], s[0:1]
	s_cbranch_execz .LBB5_14
; %bb.16:                               ;   in Loop: Header=BB5_15 Depth=1
	v_mov_b32_e32 v15, s3
	v_add_co_u32_e32 v8, vcc, s2, v0
	v_addc_co_u32_e32 v9, vcc, v1, v15, vcc
	v_add_co_u32_e32 v10, vcc, s2, v4
	v_addc_co_u32_e32 v11, vcc, v5, v15, vcc
	;; [unrolled: 2-line block ×3, first 2 shown]
	global_load_dwordx2 v[8:9], v[8:9], off
	s_nop 0
	global_load_dwordx2 v[12:13], v[10:11], off offset:8
	s_nop 0
	global_load_dwordx2 v[14:15], v[14:15], off
	s_waitcnt vmcnt(0)
	v_fmac_f64_e32 v[14:15], v[8:9], v[12:13]
	global_store_dwordx2 v[10:11], v[14:15], off
	s_branch .LBB5_14
.LBB5_17:
	s_endpgm
.LBB5_18:
	s_waitcnt lgkmcnt(0)
                                        ; implicit-def: $sgpr2_sgpr3
	s_branch .LBB5_11
	.section	.rodata,"a",@progbits
	.p2align	6, 0x0
	.amdhsa_kernel _ZN4RAJA8internal22HipKernelLauncherFixedILi256ENS0_8LoopDataIN4camp5tupleIJNS_4SpanINS_9Iterators16numeric_iteratorIllPlEElEESA_NS5_INS6_24strided_numeric_iteratorIllS8_EElEEEEENS4_IJEEENS3_9resources2v13HipEJZN8rajaperf9polybench13POLYBENCH_ADI17runHipVariantImplILm256EEEvNSJ_9VariantIDEEUllE3_ZNSM_ILm256EEEvSN_EUlllE1_ZNSM_ILm256EEEvSN_EUllE4_ZNSM_ILm256EEEvSN_EUlllE2_EEENS0_24HipStatementListExecutorISS_NS3_4listIJNS_9statement3ForILl0ENS_6policy3hip11hip_indexerINS_17iteration_mapping6DirectELNS_23kernel_sync_requirementE0EJNS_3hip11IndexGlobalILNS_9named_dimE0ELi256ELi0EEEEEEJNSV_6LambdaILl0EJNSU_IJNS0_9LambdaArgINS0_16lambda_arg_seg_tELl0EEEEEEEEENSW_ILl1ENSX_10sequential8seq_execEJNS18_ILl1EJNSU_IJS1B_NS19_IS1A_Ll1EEEEEEEEEEEENS18_ILl2EJS1C_EEENSW_ILl2ES1F_JNS18_ILl3EJNSU_IJS1B_NS19_IS1A_Ll2EEEEEEEEEEEEEEEEEENS0_9LoopTypesINSU_IJvvvEEES1S_EEEEEEvT0_
		.amdhsa_group_segment_fixed_size 0
		.amdhsa_private_segment_fixed_size 0
		.amdhsa_kernarg_size 896
		.amdhsa_user_sgpr_count 6
		.amdhsa_user_sgpr_private_segment_buffer 1
		.amdhsa_user_sgpr_dispatch_ptr 0
		.amdhsa_user_sgpr_queue_ptr 0
		.amdhsa_user_sgpr_kernarg_segment_ptr 1
		.amdhsa_user_sgpr_dispatch_id 0
		.amdhsa_user_sgpr_flat_scratch_init 0
		.amdhsa_user_sgpr_kernarg_preload_length 0
		.amdhsa_user_sgpr_kernarg_preload_offset 0
		.amdhsa_user_sgpr_private_segment_size 0
		.amdhsa_uses_dynamic_stack 0
		.amdhsa_system_sgpr_private_segment_wavefront_offset 0
		.amdhsa_system_sgpr_workgroup_id_x 1
		.amdhsa_system_sgpr_workgroup_id_y 0
		.amdhsa_system_sgpr_workgroup_id_z 0
		.amdhsa_system_sgpr_workgroup_info 0
		.amdhsa_system_vgpr_workitem_id 0
		.amdhsa_next_free_vgpr 26
		.amdhsa_next_free_sgpr 44
		.amdhsa_accum_offset 28
		.amdhsa_reserve_vcc 1
		.amdhsa_reserve_flat_scratch 0
		.amdhsa_float_round_mode_32 0
		.amdhsa_float_round_mode_16_64 0
		.amdhsa_float_denorm_mode_32 3
		.amdhsa_float_denorm_mode_16_64 3
		.amdhsa_dx10_clamp 1
		.amdhsa_ieee_mode 1
		.amdhsa_fp16_overflow 0
		.amdhsa_tg_split 0
		.amdhsa_exception_fp_ieee_invalid_op 0
		.amdhsa_exception_fp_denorm_src 0
		.amdhsa_exception_fp_ieee_div_zero 0
		.amdhsa_exception_fp_ieee_overflow 0
		.amdhsa_exception_fp_ieee_underflow 0
		.amdhsa_exception_fp_ieee_inexact 0
		.amdhsa_exception_int_div_zero 0
	.end_amdhsa_kernel
	.section	.text._ZN4RAJA8internal22HipKernelLauncherFixedILi256ENS0_8LoopDataIN4camp5tupleIJNS_4SpanINS_9Iterators16numeric_iteratorIllPlEElEESA_NS5_INS6_24strided_numeric_iteratorIllS8_EElEEEEENS4_IJEEENS3_9resources2v13HipEJZN8rajaperf9polybench13POLYBENCH_ADI17runHipVariantImplILm256EEEvNSJ_9VariantIDEEUllE3_ZNSM_ILm256EEEvSN_EUlllE1_ZNSM_ILm256EEEvSN_EUllE4_ZNSM_ILm256EEEvSN_EUlllE2_EEENS0_24HipStatementListExecutorISS_NS3_4listIJNS_9statement3ForILl0ENS_6policy3hip11hip_indexerINS_17iteration_mapping6DirectELNS_23kernel_sync_requirementE0EJNS_3hip11IndexGlobalILNS_9named_dimE0ELi256ELi0EEEEEEJNSV_6LambdaILl0EJNSU_IJNS0_9LambdaArgINS0_16lambda_arg_seg_tELl0EEEEEEEEENSW_ILl1ENSX_10sequential8seq_execEJNS18_ILl1EJNSU_IJS1B_NS19_IS1A_Ll1EEEEEEEEEEEENS18_ILl2EJS1C_EEENSW_ILl2ES1F_JNS18_ILl3EJNSU_IJS1B_NS19_IS1A_Ll2EEEEEEEEEEEEEEEEEENS0_9LoopTypesINSU_IJvvvEEES1S_EEEEEEvT0_,"axG",@progbits,_ZN4RAJA8internal22HipKernelLauncherFixedILi256ENS0_8LoopDataIN4camp5tupleIJNS_4SpanINS_9Iterators16numeric_iteratorIllPlEElEESA_NS5_INS6_24strided_numeric_iteratorIllS8_EElEEEEENS4_IJEEENS3_9resources2v13HipEJZN8rajaperf9polybench13POLYBENCH_ADI17runHipVariantImplILm256EEEvNSJ_9VariantIDEEUllE3_ZNSM_ILm256EEEvSN_EUlllE1_ZNSM_ILm256EEEvSN_EUllE4_ZNSM_ILm256EEEvSN_EUlllE2_EEENS0_24HipStatementListExecutorISS_NS3_4listIJNS_9statement3ForILl0ENS_6policy3hip11hip_indexerINS_17iteration_mapping6DirectELNS_23kernel_sync_requirementE0EJNS_3hip11IndexGlobalILNS_9named_dimE0ELi256ELi0EEEEEEJNSV_6LambdaILl0EJNSU_IJNS0_9LambdaArgINS0_16lambda_arg_seg_tELl0EEEEEEEEENSW_ILl1ENSX_10sequential8seq_execEJNS18_ILl1EJNSU_IJS1B_NS19_IS1A_Ll1EEEEEEEEEEEENS18_ILl2EJS1C_EEENSW_ILl2ES1F_JNS18_ILl3EJNSU_IJS1B_NS19_IS1A_Ll2EEEEEEEEEEEEEEEEEENS0_9LoopTypesINSU_IJvvvEEES1S_EEEEEEvT0_,comdat
.Lfunc_end5:
	.size	_ZN4RAJA8internal22HipKernelLauncherFixedILi256ENS0_8LoopDataIN4camp5tupleIJNS_4SpanINS_9Iterators16numeric_iteratorIllPlEElEESA_NS5_INS6_24strided_numeric_iteratorIllS8_EElEEEEENS4_IJEEENS3_9resources2v13HipEJZN8rajaperf9polybench13POLYBENCH_ADI17runHipVariantImplILm256EEEvNSJ_9VariantIDEEUllE3_ZNSM_ILm256EEEvSN_EUlllE1_ZNSM_ILm256EEEvSN_EUllE4_ZNSM_ILm256EEEvSN_EUlllE2_EEENS0_24HipStatementListExecutorISS_NS3_4listIJNS_9statement3ForILl0ENS_6policy3hip11hip_indexerINS_17iteration_mapping6DirectELNS_23kernel_sync_requirementE0EJNS_3hip11IndexGlobalILNS_9named_dimE0ELi256ELi0EEEEEEJNSV_6LambdaILl0EJNSU_IJNS0_9LambdaArgINS0_16lambda_arg_seg_tELl0EEEEEEEEENSW_ILl1ENSX_10sequential8seq_execEJNS18_ILl1EJNSU_IJS1B_NS19_IS1A_Ll1EEEEEEEEEEEENS18_ILl2EJS1C_EEENSW_ILl2ES1F_JNS18_ILl3EJNSU_IJS1B_NS19_IS1A_Ll2EEEEEEEEEEEEEEEEEENS0_9LoopTypesINSU_IJvvvEEES1S_EEEEEEvT0_, .Lfunc_end5-_ZN4RAJA8internal22HipKernelLauncherFixedILi256ENS0_8LoopDataIN4camp5tupleIJNS_4SpanINS_9Iterators16numeric_iteratorIllPlEElEESA_NS5_INS6_24strided_numeric_iteratorIllS8_EElEEEEENS4_IJEEENS3_9resources2v13HipEJZN8rajaperf9polybench13POLYBENCH_ADI17runHipVariantImplILm256EEEvNSJ_9VariantIDEEUllE3_ZNSM_ILm256EEEvSN_EUlllE1_ZNSM_ILm256EEEvSN_EUllE4_ZNSM_ILm256EEEvSN_EUlllE2_EEENS0_24HipStatementListExecutorISS_NS3_4listIJNS_9statement3ForILl0ENS_6policy3hip11hip_indexerINS_17iteration_mapping6DirectELNS_23kernel_sync_requirementE0EJNS_3hip11IndexGlobalILNS_9named_dimE0ELi256ELi0EEEEEEJNSV_6LambdaILl0EJNSU_IJNS0_9LambdaArgINS0_16lambda_arg_seg_tELl0EEEEEEEEENSW_ILl1ENSX_10sequential8seq_execEJNS18_ILl1EJNSU_IJS1B_NS19_IS1A_Ll1EEEEEEEEEEEENS18_ILl2EJS1C_EEENSW_ILl2ES1F_JNS18_ILl3EJNSU_IJS1B_NS19_IS1A_Ll2EEEEEEEEEEEEEEEEEENS0_9LoopTypesINSU_IJvvvEEES1S_EEEEEEvT0_
                                        ; -- End function
	.section	.AMDGPU.csdata,"",@progbits
; Kernel info:
; codeLenInByte = 2336
; NumSgprs: 48
; NumVgprs: 26
; NumAgprs: 0
; TotalNumVgprs: 26
; ScratchSize: 0
; MemoryBound: 1
; FloatMode: 240
; IeeeMode: 1
; LDSByteSize: 0 bytes/workgroup (compile time only)
; SGPRBlocks: 5
; VGPRBlocks: 3
; NumSGPRsForWavesPerEU: 48
; NumVGPRsForWavesPerEU: 26
; AccumOffset: 28
; Occupancy: 8
; WaveLimiterHint : 0
; COMPUTE_PGM_RSRC2:SCRATCH_EN: 0
; COMPUTE_PGM_RSRC2:USER_SGPR: 6
; COMPUTE_PGM_RSRC2:TRAP_HANDLER: 0
; COMPUTE_PGM_RSRC2:TGID_X_EN: 1
; COMPUTE_PGM_RSRC2:TGID_Y_EN: 0
; COMPUTE_PGM_RSRC2:TGID_Z_EN: 0
; COMPUTE_PGM_RSRC2:TIDIG_COMP_CNT: 0
; COMPUTE_PGM_RSRC3_GFX90A:ACCUM_OFFSET: 6
; COMPUTE_PGM_RSRC3_GFX90A:TG_SPLIT: 0
	.text
	.p2alignl 6, 3212836864
	.fill 256, 4, 3212836864
	.type	__hip_cuid_426644a93065b1db,@object ; @__hip_cuid_426644a93065b1db
	.section	.bss,"aw",@nobits
	.globl	__hip_cuid_426644a93065b1db
__hip_cuid_426644a93065b1db:
	.byte	0                               ; 0x0
	.size	__hip_cuid_426644a93065b1db, 1

	.ident	"AMD clang version 19.0.0git (https://github.com/RadeonOpenCompute/llvm-project roc-6.4.0 25133 c7fe45cf4b819c5991fe208aaa96edf142730f1d)"
	.section	".note.GNU-stack","",@progbits
	.addrsig
	.addrsig_sym __hip_cuid_426644a93065b1db
	.amdgpu_metadata
---
amdhsa.kernels:
  - .agpr_count:     0
    .args:
      - .offset:         0
        .size:           8
        .value_kind:     by_value
      - .offset:         8
        .size:           8
        .value_kind:     by_value
      - .offset:         16
        .size:           8
        .value_kind:     by_value
      - .offset:         24
        .size:           8
        .value_kind:     by_value
      - .offset:         32
        .size:           8
        .value_kind:     by_value
      - .offset:         40
        .size:           8
        .value_kind:     by_value
      - .address_space:  global
        .offset:         48
        .size:           8
        .value_kind:     global_buffer
      - .address_space:  global
        .offset:         56
        .size:           8
        .value_kind:     global_buffer
      - .address_space:  global
        .offset:         64
        .size:           8
        .value_kind:     global_buffer
      - .address_space:  global
        .offset:         72
        .size:           8
        .value_kind:     global_buffer
    .group_segment_fixed_size: 0
    .kernarg_segment_align: 8
    .kernarg_segment_size: 80
    .language:       OpenCL C
    .language_version:
      - 2
      - 0
    .max_flat_workgroup_size: 256
    .name:           _ZN8rajaperf9polybench9poly_adi1ILm256EEEvldddddPdS2_S2_S2_
    .private_segment_fixed_size: 0
    .sgpr_count:     42
    .sgpr_spill_count: 0
    .symbol:         _ZN8rajaperf9polybench9poly_adi1ILm256EEEvldddddPdS2_S2_S2_.kd
    .uniform_work_group_size: 1
    .uses_dynamic_stack: false
    .vgpr_count:     34
    .vgpr_spill_count: 0
    .wavefront_size: 64
  - .agpr_count:     0
    .args:
      - .offset:         0
        .size:           8
        .value_kind:     by_value
      - .offset:         8
        .size:           8
        .value_kind:     by_value
      - .offset:         16
        .size:           8
        .value_kind:     by_value
      - .offset:         24
        .size:           8
        .value_kind:     by_value
      - .offset:         32
        .size:           8
        .value_kind:     by_value
      - .offset:         40
        .size:           8
        .value_kind:     by_value
      - .address_space:  global
        .offset:         48
        .size:           8
        .value_kind:     global_buffer
      - .address_space:  global
        .offset:         56
        .size:           8
        .value_kind:     global_buffer
      - .address_space:  global
        .offset:         64
        .size:           8
        .value_kind:     global_buffer
      - .address_space:  global
        .offset:         72
        .size:           8
        .value_kind:     global_buffer
    .group_segment_fixed_size: 0
    .kernarg_segment_align: 8
    .kernarg_segment_size: 80
    .language:       OpenCL C
    .language_version:
      - 2
      - 0
    .max_flat_workgroup_size: 256
    .name:           _ZN8rajaperf9polybench9poly_adi2ILm256EEEvldddddPdS2_S2_S2_
    .private_segment_fixed_size: 0
    .sgpr_count:     36
    .sgpr_spill_count: 0
    .symbol:         _ZN8rajaperf9polybench9poly_adi2ILm256EEEvldddddPdS2_S2_S2_.kd
    .uniform_work_group_size: 1
    .uses_dynamic_stack: false
    .vgpr_count:     38
    .vgpr_spill_count: 0
    .wavefront_size: 64
  - .agpr_count:     0
    .args:
      - .offset:         0
        .size:           8
        .value_kind:     by_value
      - .offset:         8
        .size:           80
        .value_kind:     by_value
    .group_segment_fixed_size: 0
    .kernarg_segment_align: 8
    .kernarg_segment_size: 88
    .language:       OpenCL C
    .language_version:
      - 2
      - 0
    .max_flat_workgroup_size: 256
    .name:           _ZN8rajaperf9polybench12poly_adi_lamILm256EZNS0_13POLYBENCH_ADI17runHipVariantImplILm256EEEvNS_9VariantIDEEUllE_EEvlT0_
    .private_segment_fixed_size: 0
    .sgpr_count:     44
    .sgpr_spill_count: 0
    .symbol:         _ZN8rajaperf9polybench12poly_adi_lamILm256EZNS0_13POLYBENCH_ADI17runHipVariantImplILm256EEEvNS_9VariantIDEEUllE_EEvlT0_.kd
    .uniform_work_group_size: 1
    .uses_dynamic_stack: false
    .vgpr_count:     30
    .vgpr_spill_count: 0
    .wavefront_size: 64
  - .agpr_count:     0
    .args:
      - .offset:         0
        .size:           8
        .value_kind:     by_value
      - .offset:         8
        .size:           80
        .value_kind:     by_value
    .group_segment_fixed_size: 0
    .kernarg_segment_align: 8
    .kernarg_segment_size: 88
    .language:       OpenCL C
    .language_version:
      - 2
      - 0
    .max_flat_workgroup_size: 256
    .name:           _ZN8rajaperf9polybench12poly_adi_lamILm256EZNS0_13POLYBENCH_ADI17runHipVariantImplILm256EEEvNS_9VariantIDEEUllE0_EEvlT0_
    .private_segment_fixed_size: 0
    .sgpr_count:     40
    .sgpr_spill_count: 0
    .symbol:         _ZN8rajaperf9polybench12poly_adi_lamILm256EZNS0_13POLYBENCH_ADI17runHipVariantImplILm256EEEvNS_9VariantIDEEUllE0_EEvlT0_.kd
    .uniform_work_group_size: 1
    .uses_dynamic_stack: false
    .vgpr_count:     34
    .vgpr_spill_count: 0
    .wavefront_size: 64
  - .agpr_count:     0
    .args:
      - .offset:         0
        .size:           896
        .value_kind:     by_value
    .group_segment_fixed_size: 0
    .kernarg_segment_align: 8
    .kernarg_segment_size: 896
    .language:       OpenCL C
    .language_version:
      - 2
      - 0
    .max_flat_workgroup_size: 256
    .name:           _ZN4RAJA8internal22HipKernelLauncherFixedILi256ENS0_8LoopDataIN4camp5tupleIJNS_4SpanINS_9Iterators16numeric_iteratorIllPlEElEESA_NS5_INS6_24strided_numeric_iteratorIllS8_EElEEEEENS4_IJEEENS3_9resources2v13HipEJZN8rajaperf9polybench13POLYBENCH_ADI17runHipVariantImplILm256EEEvNSJ_9VariantIDEEUllE1_ZNSM_ILm256EEEvSN_EUlllE_ZNSM_ILm256EEEvSN_EUllE2_ZNSM_ILm256EEEvSN_EUlllE0_EEENS0_24HipStatementListExecutorISS_NS3_4listIJNS_9statement3ForILl0ENS_6policy3hip11hip_indexerINS_17iteration_mapping6DirectELNS_23kernel_sync_requirementE0EJNS_3hip11IndexGlobalILNS_9named_dimE0ELi256ELi0EEEEEEJNSV_6LambdaILl0EJNSU_IJNS0_9LambdaArgINS0_16lambda_arg_seg_tELl0EEEEEEEEENSW_ILl1ENSX_10sequential8seq_execEJNS18_ILl1EJNSU_IJS1B_NS19_IS1A_Ll1EEEEEEEEEEEENS18_ILl2EJS1C_EEENSW_ILl2ES1F_JNS18_ILl3EJNSU_IJS1B_NS19_IS1A_Ll2EEEEEEEEEEEEEEEEEENS0_9LoopTypesINSU_IJvvvEEES1S_EEEEEEvT0_
    .private_segment_fixed_size: 0
    .sgpr_count:     48
    .sgpr_spill_count: 0
    .symbol:         _ZN4RAJA8internal22HipKernelLauncherFixedILi256ENS0_8LoopDataIN4camp5tupleIJNS_4SpanINS_9Iterators16numeric_iteratorIllPlEElEESA_NS5_INS6_24strided_numeric_iteratorIllS8_EElEEEEENS4_IJEEENS3_9resources2v13HipEJZN8rajaperf9polybench13POLYBENCH_ADI17runHipVariantImplILm256EEEvNSJ_9VariantIDEEUllE1_ZNSM_ILm256EEEvSN_EUlllE_ZNSM_ILm256EEEvSN_EUllE2_ZNSM_ILm256EEEvSN_EUlllE0_EEENS0_24HipStatementListExecutorISS_NS3_4listIJNS_9statement3ForILl0ENS_6policy3hip11hip_indexerINS_17iteration_mapping6DirectELNS_23kernel_sync_requirementE0EJNS_3hip11IndexGlobalILNS_9named_dimE0ELi256ELi0EEEEEEJNSV_6LambdaILl0EJNSU_IJNS0_9LambdaArgINS0_16lambda_arg_seg_tELl0EEEEEEEEENSW_ILl1ENSX_10sequential8seq_execEJNS18_ILl1EJNSU_IJS1B_NS19_IS1A_Ll1EEEEEEEEEEEENS18_ILl2EJS1C_EEENSW_ILl2ES1F_JNS18_ILl3EJNSU_IJS1B_NS19_IS1A_Ll2EEEEEEEEEEEEEEEEEENS0_9LoopTypesINSU_IJvvvEEES1S_EEEEEEvT0_.kd
    .uniform_work_group_size: 1
    .uses_dynamic_stack: false
    .vgpr_count:     22
    .vgpr_spill_count: 0
    .wavefront_size: 64
  - .agpr_count:     0
    .args:
      - .offset:         0
        .size:           896
        .value_kind:     by_value
    .group_segment_fixed_size: 0
    .kernarg_segment_align: 8
    .kernarg_segment_size: 896
    .language:       OpenCL C
    .language_version:
      - 2
      - 0
    .max_flat_workgroup_size: 256
    .name:           _ZN4RAJA8internal22HipKernelLauncherFixedILi256ENS0_8LoopDataIN4camp5tupleIJNS_4SpanINS_9Iterators16numeric_iteratorIllPlEElEESA_NS5_INS6_24strided_numeric_iteratorIllS8_EElEEEEENS4_IJEEENS3_9resources2v13HipEJZN8rajaperf9polybench13POLYBENCH_ADI17runHipVariantImplILm256EEEvNSJ_9VariantIDEEUllE3_ZNSM_ILm256EEEvSN_EUlllE1_ZNSM_ILm256EEEvSN_EUllE4_ZNSM_ILm256EEEvSN_EUlllE2_EEENS0_24HipStatementListExecutorISS_NS3_4listIJNS_9statement3ForILl0ENS_6policy3hip11hip_indexerINS_17iteration_mapping6DirectELNS_23kernel_sync_requirementE0EJNS_3hip11IndexGlobalILNS_9named_dimE0ELi256ELi0EEEEEEJNSV_6LambdaILl0EJNSU_IJNS0_9LambdaArgINS0_16lambda_arg_seg_tELl0EEEEEEEEENSW_ILl1ENSX_10sequential8seq_execEJNS18_ILl1EJNSU_IJS1B_NS19_IS1A_Ll1EEEEEEEEEEEENS18_ILl2EJS1C_EEENSW_ILl2ES1F_JNS18_ILl3EJNSU_IJS1B_NS19_IS1A_Ll2EEEEEEEEEEEEEEEEEENS0_9LoopTypesINSU_IJvvvEEES1S_EEEEEEvT0_
    .private_segment_fixed_size: 0
    .sgpr_count:     48
    .sgpr_spill_count: 0
    .symbol:         _ZN4RAJA8internal22HipKernelLauncherFixedILi256ENS0_8LoopDataIN4camp5tupleIJNS_4SpanINS_9Iterators16numeric_iteratorIllPlEElEESA_NS5_INS6_24strided_numeric_iteratorIllS8_EElEEEEENS4_IJEEENS3_9resources2v13HipEJZN8rajaperf9polybench13POLYBENCH_ADI17runHipVariantImplILm256EEEvNSJ_9VariantIDEEUllE3_ZNSM_ILm256EEEvSN_EUlllE1_ZNSM_ILm256EEEvSN_EUllE4_ZNSM_ILm256EEEvSN_EUlllE2_EEENS0_24HipStatementListExecutorISS_NS3_4listIJNS_9statement3ForILl0ENS_6policy3hip11hip_indexerINS_17iteration_mapping6DirectELNS_23kernel_sync_requirementE0EJNS_3hip11IndexGlobalILNS_9named_dimE0ELi256ELi0EEEEEEJNSV_6LambdaILl0EJNSU_IJNS0_9LambdaArgINS0_16lambda_arg_seg_tELl0EEEEEEEEENSW_ILl1ENSX_10sequential8seq_execEJNS18_ILl1EJNSU_IJS1B_NS19_IS1A_Ll1EEEEEEEEEEEENS18_ILl2EJS1C_EEENSW_ILl2ES1F_JNS18_ILl3EJNSU_IJS1B_NS19_IS1A_Ll2EEEEEEEEEEEEEEEEEENS0_9LoopTypesINSU_IJvvvEEES1S_EEEEEEvT0_.kd
    .uniform_work_group_size: 1
    .uses_dynamic_stack: false
    .vgpr_count:     26
    .vgpr_spill_count: 0
    .wavefront_size: 64
amdhsa.target:   amdgcn-amd-amdhsa--gfx90a
amdhsa.version:
  - 1
  - 2
...

	.end_amdgpu_metadata
